;; amdgpu-corpus repo=ROCm/rocFFT kind=compiled arch=gfx906 opt=O3
	.text
	.amdgcn_target "amdgcn-amd-amdhsa--gfx906"
	.amdhsa_code_object_version 6
	.protected	fft_rtc_back_len1190_factors_17_2_5_7_wgs_255_tpt_85_halfLds_sp_ip_CI_sbrr_dirReg ; -- Begin function fft_rtc_back_len1190_factors_17_2_5_7_wgs_255_tpt_85_halfLds_sp_ip_CI_sbrr_dirReg
	.globl	fft_rtc_back_len1190_factors_17_2_5_7_wgs_255_tpt_85_halfLds_sp_ip_CI_sbrr_dirReg
	.p2align	8
	.type	fft_rtc_back_len1190_factors_17_2_5_7_wgs_255_tpt_85_halfLds_sp_ip_CI_sbrr_dirReg,@function
fft_rtc_back_len1190_factors_17_2_5_7_wgs_255_tpt_85_halfLds_sp_ip_CI_sbrr_dirReg: ; @fft_rtc_back_len1190_factors_17_2_5_7_wgs_255_tpt_85_halfLds_sp_ip_CI_sbrr_dirReg
; %bb.0:
	s_load_dwordx2 s[2:3], s[4:5], 0x18
	s_load_dwordx4 s[8:11], s[4:5], 0x0
	s_load_dwordx2 s[14:15], s[4:5], 0x50
	v_mul_u32_u24_e32 v1, 0x304, v0
	v_lshrrev_b32_e32 v1, 16, v1
	s_waitcnt lgkmcnt(0)
	s_load_dwordx2 s[12:13], s[2:3], 0x0
	v_mad_u64_u32 v[4:5], s[0:1], s6, 3, v[1:2]
	v_mov_b32_e32 v6, 0
	v_cmp_lt_u64_e64 s[0:1], s[10:11], 2
	v_mov_b32_e32 v5, v6
	v_mov_b32_e32 v1, 0
	;; [unrolled: 1-line block ×3, first 2 shown]
	s_and_b64 vcc, exec, s[0:1]
	v_mov_b32_e32 v2, 0
	v_mov_b32_e32 v10, v4
	s_cbranch_vccnz .LBB0_8
; %bb.1:
	s_load_dwordx2 s[0:1], s[4:5], 0x10
	s_add_u32 s6, s2, 8
	s_addc_u32 s7, s3, 0
	v_mov_b32_e32 v1, 0
	v_mov_b32_e32 v9, v5
	s_waitcnt lgkmcnt(0)
	s_add_u32 s18, s0, 8
	s_mov_b64 s[16:17], 1
	v_mov_b32_e32 v2, 0
	s_addc_u32 s19, s1, 0
	v_mov_b32_e32 v8, v4
.LBB0_2:                                ; =>This Inner Loop Header: Depth=1
	s_load_dwordx2 s[20:21], s[18:19], 0x0
                                        ; implicit-def: $vgpr10_vgpr11
	s_waitcnt lgkmcnt(0)
	v_or_b32_e32 v7, s21, v9
	v_cmp_ne_u64_e32 vcc, 0, v[6:7]
	s_and_saveexec_b64 s[0:1], vcc
	s_xor_b64 s[22:23], exec, s[0:1]
	s_cbranch_execz .LBB0_4
; %bb.3:                                ;   in Loop: Header=BB0_2 Depth=1
	v_cvt_f32_u32_e32 v3, s20
	v_cvt_f32_u32_e32 v5, s21
	s_sub_u32 s0, 0, s20
	s_subb_u32 s1, 0, s21
	v_mac_f32_e32 v3, 0x4f800000, v5
	v_rcp_f32_e32 v3, v3
	v_mul_f32_e32 v3, 0x5f7ffffc, v3
	v_mul_f32_e32 v5, 0x2f800000, v3
	v_trunc_f32_e32 v5, v5
	v_mac_f32_e32 v3, 0xcf800000, v5
	v_cvt_u32_f32_e32 v5, v5
	v_cvt_u32_f32_e32 v3, v3
	v_mul_lo_u32 v7, s0, v5
	v_mul_hi_u32 v10, s0, v3
	v_mul_lo_u32 v12, s1, v3
	v_mul_lo_u32 v11, s0, v3
	v_add_u32_e32 v7, v10, v7
	v_add_u32_e32 v7, v7, v12
	v_mul_hi_u32 v10, v3, v11
	v_mul_lo_u32 v12, v3, v7
	v_mul_hi_u32 v14, v3, v7
	v_mul_hi_u32 v13, v5, v11
	v_mul_lo_u32 v11, v5, v11
	v_mul_hi_u32 v15, v5, v7
	v_add_co_u32_e32 v10, vcc, v10, v12
	v_addc_co_u32_e32 v12, vcc, 0, v14, vcc
	v_mul_lo_u32 v7, v5, v7
	v_add_co_u32_e32 v10, vcc, v10, v11
	v_addc_co_u32_e32 v10, vcc, v12, v13, vcc
	v_addc_co_u32_e32 v11, vcc, 0, v15, vcc
	v_add_co_u32_e32 v7, vcc, v10, v7
	v_addc_co_u32_e32 v10, vcc, 0, v11, vcc
	v_add_co_u32_e32 v3, vcc, v3, v7
	v_addc_co_u32_e32 v5, vcc, v5, v10, vcc
	v_mul_lo_u32 v7, s0, v5
	v_mul_hi_u32 v10, s0, v3
	v_mul_lo_u32 v11, s1, v3
	v_mul_lo_u32 v12, s0, v3
	v_add_u32_e32 v7, v10, v7
	v_add_u32_e32 v7, v7, v11
	v_mul_lo_u32 v13, v3, v7
	v_mul_hi_u32 v14, v3, v12
	v_mul_hi_u32 v15, v3, v7
	;; [unrolled: 1-line block ×3, first 2 shown]
	v_mul_lo_u32 v12, v5, v12
	v_mul_hi_u32 v10, v5, v7
	v_add_co_u32_e32 v13, vcc, v14, v13
	v_addc_co_u32_e32 v14, vcc, 0, v15, vcc
	v_mul_lo_u32 v7, v5, v7
	v_add_co_u32_e32 v12, vcc, v13, v12
	v_addc_co_u32_e32 v11, vcc, v14, v11, vcc
	v_addc_co_u32_e32 v10, vcc, 0, v10, vcc
	v_add_co_u32_e32 v7, vcc, v11, v7
	v_addc_co_u32_e32 v10, vcc, 0, v10, vcc
	v_add_co_u32_e32 v3, vcc, v3, v7
	v_addc_co_u32_e32 v5, vcc, v5, v10, vcc
	v_mad_u64_u32 v[10:11], s[0:1], v8, v5, 0
	v_mul_hi_u32 v7, v8, v3
	v_mad_u64_u32 v[12:13], s[0:1], v9, v5, 0
	v_add_co_u32_e32 v7, vcc, v7, v10
	v_addc_co_u32_e32 v14, vcc, 0, v11, vcc
	v_mad_u64_u32 v[10:11], s[0:1], v9, v3, 0
	v_add_co_u32_e32 v3, vcc, v7, v10
	v_addc_co_u32_e32 v3, vcc, v14, v11, vcc
	v_addc_co_u32_e32 v5, vcc, 0, v13, vcc
	v_add_co_u32_e32 v3, vcc, v3, v12
	v_addc_co_u32_e32 v5, vcc, 0, v5, vcc
	v_mul_lo_u32 v7, s21, v3
	v_mul_lo_u32 v12, s20, v5
	v_mad_u64_u32 v[10:11], s[0:1], s20, v3, 0
	v_add3_u32 v7, v11, v12, v7
	v_sub_u32_e32 v11, v9, v7
	v_mov_b32_e32 v12, s21
	v_sub_co_u32_e32 v10, vcc, v8, v10
	v_subb_co_u32_e64 v11, s[0:1], v11, v12, vcc
	v_subrev_co_u32_e64 v12, s[0:1], s20, v10
	v_subbrev_co_u32_e64 v11, s[0:1], 0, v11, s[0:1]
	v_cmp_le_u32_e64 s[0:1], s21, v11
	v_cndmask_b32_e64 v13, 0, -1, s[0:1]
	v_cmp_le_u32_e64 s[0:1], s20, v12
	v_cndmask_b32_e64 v12, 0, -1, s[0:1]
	v_cmp_eq_u32_e64 s[0:1], s21, v11
	v_cndmask_b32_e64 v11, v13, v12, s[0:1]
	v_add_co_u32_e64 v12, s[0:1], 2, v3
	v_addc_co_u32_e64 v13, s[0:1], 0, v5, s[0:1]
	v_add_co_u32_e64 v14, s[0:1], 1, v3
	v_addc_co_u32_e64 v15, s[0:1], 0, v5, s[0:1]
	v_subb_co_u32_e32 v7, vcc, v9, v7, vcc
	v_cmp_ne_u32_e64 s[0:1], 0, v11
	v_cmp_le_u32_e32 vcc, s21, v7
	v_cndmask_b32_e64 v11, v15, v13, s[0:1]
	v_cndmask_b32_e64 v13, 0, -1, vcc
	v_cmp_le_u32_e32 vcc, s20, v10
	v_cndmask_b32_e64 v10, 0, -1, vcc
	v_cmp_eq_u32_e32 vcc, s21, v7
	v_cndmask_b32_e32 v7, v13, v10, vcc
	v_cmp_ne_u32_e32 vcc, 0, v7
	v_cndmask_b32_e32 v11, v5, v11, vcc
	v_cndmask_b32_e64 v5, v14, v12, s[0:1]
	v_cndmask_b32_e32 v10, v3, v5, vcc
.LBB0_4:                                ;   in Loop: Header=BB0_2 Depth=1
	s_andn2_saveexec_b64 s[0:1], s[22:23]
	s_cbranch_execz .LBB0_6
; %bb.5:                                ;   in Loop: Header=BB0_2 Depth=1
	v_cvt_f32_u32_e32 v3, s20
	s_sub_i32 s22, 0, s20
	v_mov_b32_e32 v11, v6
	v_rcp_iflag_f32_e32 v3, v3
	v_mul_f32_e32 v3, 0x4f7ffffe, v3
	v_cvt_u32_f32_e32 v3, v3
	v_mul_lo_u32 v5, s22, v3
	v_mul_hi_u32 v5, v3, v5
	v_add_u32_e32 v3, v3, v5
	v_mul_hi_u32 v3, v8, v3
	v_mul_lo_u32 v5, v3, s20
	v_add_u32_e32 v7, 1, v3
	v_sub_u32_e32 v5, v8, v5
	v_subrev_u32_e32 v10, s20, v5
	v_cmp_le_u32_e32 vcc, s20, v5
	v_cndmask_b32_e32 v5, v5, v10, vcc
	v_cndmask_b32_e32 v3, v3, v7, vcc
	v_add_u32_e32 v7, 1, v3
	v_cmp_le_u32_e32 vcc, s20, v5
	v_cndmask_b32_e32 v10, v3, v7, vcc
.LBB0_6:                                ;   in Loop: Header=BB0_2 Depth=1
	s_or_b64 exec, exec, s[0:1]
	v_mul_lo_u32 v3, v11, s20
	v_mul_lo_u32 v5, v10, s21
	v_mad_u64_u32 v[12:13], s[0:1], v10, s20, 0
	s_load_dwordx2 s[0:1], s[6:7], 0x0
	s_add_u32 s16, s16, 1
	v_add3_u32 v3, v13, v5, v3
	v_sub_co_u32_e32 v5, vcc, v8, v12
	v_subb_co_u32_e32 v3, vcc, v9, v3, vcc
	s_waitcnt lgkmcnt(0)
	v_mul_lo_u32 v3, s0, v3
	v_mul_lo_u32 v7, s1, v5
	v_mad_u64_u32 v[1:2], s[0:1], s0, v5, v[1:2]
	s_addc_u32 s17, s17, 0
	s_add_u32 s6, s6, 8
	v_add3_u32 v2, v7, v2, v3
	v_mov_b32_e32 v7, s10
	v_mov_b32_e32 v8, s11
	s_addc_u32 s7, s7, 0
	v_cmp_ge_u64_e32 vcc, s[16:17], v[7:8]
	s_add_u32 s18, s18, 8
	s_addc_u32 s19, s19, 0
	s_cbranch_vccnz .LBB0_8
; %bb.7:                                ;   in Loop: Header=BB0_2 Depth=1
	v_mov_b32_e32 v8, v10
	v_mov_b32_e32 v9, v11
	s_branch .LBB0_2
.LBB0_8:
	s_lshl_b64 s[0:1], s[10:11], 3
	s_add_u32 s0, s2, s0
	s_addc_u32 s1, s3, s1
	s_load_dwordx2 s[2:3], s[0:1], 0x0
	s_load_dwordx2 s[6:7], s[4:5], 0x20
                                        ; implicit-def: $vgpr8
                                        ; implicit-def: $vgpr12
                                        ; implicit-def: $vgpr14
                                        ; implicit-def: $vgpr16
                                        ; implicit-def: $vgpr18
                                        ; implicit-def: $vgpr20
                                        ; implicit-def: $vgpr22
                                        ; implicit-def: $vgpr24
                                        ; implicit-def: $vgpr26
                                        ; implicit-def: $vgpr28
                                        ; implicit-def: $vgpr36
                                        ; implicit-def: $vgpr34
                                        ; implicit-def: $vgpr30
                                        ; implicit-def: $vgpr32
	s_waitcnt lgkmcnt(0)
	v_mad_u64_u32 v[1:2], s[0:1], s2, v10, v[1:2]
	s_mov_b32 s0, 0x3030304
	v_mul_lo_u32 v3, s2, v11
	v_mul_lo_u32 v5, s3, v10
	v_mul_hi_u32 v6, v0, s0
	v_cmp_gt_u64_e32 vcc, s[6:7], v[10:11]
	s_movk_i32 s0, 0x46
	v_add3_u32 v2, v5, v2, v3
	v_mul_u32_u24_e32 v3, 0x55, v6
	v_sub_u32_e32 v53, v0, v3
	v_cmp_gt_u32_e64 s[0:1], s0, v53
	v_lshlrev_b64 v[0:1], 3, v[1:2]
	s_and_b64 s[2:3], vcc, s[0:1]
	v_mov_b32_e32 v3, 0
	v_mov_b32_e32 v2, 0
                                        ; implicit-def: $vgpr6
                                        ; implicit-def: $vgpr10
	s_and_saveexec_b64 s[4:5], s[2:3]
	s_cbranch_execz .LBB0_10
; %bb.9:
	v_mad_u64_u32 v[2:3], s[2:3], s12, v53, 0
	v_add_u32_e32 v9, 0x46, v53
	v_mov_b32_e32 v8, s15
	v_mad_u64_u32 v[5:6], s[2:3], s13, v53, v[3:4]
	v_mad_u64_u32 v[6:7], s[2:3], s12, v9, 0
	v_mov_b32_e32 v3, v5
	v_add_co_u32_e64 v10, s[2:3], s14, v0
	v_mov_b32_e32 v5, v7
	v_addc_co_u32_e64 v11, s[2:3], v8, v1, s[2:3]
	v_mad_u64_u32 v[7:8], s[2:3], s13, v9, v[5:6]
	v_add_u32_e32 v12, 0x8c, v53
	v_mad_u64_u32 v[8:9], s[2:3], s12, v12, 0
	v_lshlrev_b64 v[2:3], 3, v[2:3]
	v_add_co_u32_e64 v33, s[2:3], v10, v2
	v_mov_b32_e32 v5, v9
	v_addc_co_u32_e64 v34, s[2:3], v11, v3, s[2:3]
	v_lshlrev_b64 v[2:3], 3, v[6:7]
	v_mad_u64_u32 v[5:6], s[2:3], s13, v12, v[5:6]
	v_add_u32_e32 v12, 0xd2, v53
	v_mad_u64_u32 v[6:7], s[2:3], s12, v12, 0
	v_add_co_u32_e64 v35, s[2:3], v10, v2
	v_mov_b32_e32 v9, v5
	v_mov_b32_e32 v5, v7
	v_addc_co_u32_e64 v36, s[2:3], v11, v3, s[2:3]
	v_lshlrev_b64 v[2:3], 3, v[8:9]
	v_mad_u64_u32 v[7:8], s[2:3], s13, v12, v[5:6]
	v_add_u32_e32 v12, 0x118, v53
	v_mad_u64_u32 v[8:9], s[2:3], s12, v12, 0
	v_add_co_u32_e64 v37, s[2:3], v10, v2
	v_mov_b32_e32 v5, v9
	v_addc_co_u32_e64 v38, s[2:3], v11, v3, s[2:3]
	v_lshlrev_b64 v[2:3], 3, v[6:7]
	v_mad_u64_u32 v[5:6], s[2:3], s13, v12, v[5:6]
	v_add_u32_e32 v12, 0x15e, v53
	v_mad_u64_u32 v[6:7], s[2:3], s12, v12, 0
	v_add_co_u32_e64 v39, s[2:3], v10, v2
	v_mov_b32_e32 v9, v5
	v_mov_b32_e32 v5, v7
	v_addc_co_u32_e64 v40, s[2:3], v11, v3, s[2:3]
	v_lshlrev_b64 v[2:3], 3, v[8:9]
	v_mad_u64_u32 v[7:8], s[2:3], s13, v12, v[5:6]
	v_add_u32_e32 v12, 0x1a4, v53
	v_mad_u64_u32 v[8:9], s[2:3], s12, v12, 0
	;; [unrolled: 15-line block ×7, first 2 shown]
	v_add_co_u32_e64 v62, s[2:3], v10, v2
	v_mov_b32_e32 v5, v9
	v_addc_co_u32_e64 v63, s[2:3], v11, v3, s[2:3]
	v_lshlrev_b64 v[2:3], 3, v[6:7]
	v_mad_u64_u32 v[5:6], s[2:3], s13, v12, v[5:6]
	v_add_co_u32_e64 v64, s[2:3], v10, v2
	v_mov_b32_e32 v9, v5
	v_addc_co_u32_e64 v65, s[2:3], v11, v3, s[2:3]
	v_lshlrev_b64 v[2:3], 3, v[8:9]
	v_add_co_u32_e64 v66, s[2:3], v10, v2
	v_addc_co_u32_e64 v67, s[2:3], v11, v3, s[2:3]
	global_load_dwordx2 v[2:3], v[33:34], off
	global_load_dwordx2 v[5:6], v[35:36], off
	;; [unrolled: 1-line block ×15, first 2 shown]
                                        ; kill: killed $vgpr56 killed $vgpr57
                                        ; kill: killed $vgpr45 killed $vgpr46
                                        ; kill: killed $vgpr35 killed $vgpr36
                                        ; kill: killed $vgpr60 killed $vgpr61
                                        ; kill: killed $vgpr49 killed $vgpr50
                                        ; kill: killed $vgpr39 killed $vgpr40
                                        ; kill: killed $vgpr54 killed $vgpr55
                                        ; kill: killed $vgpr43 killed $vgpr44
                                        ; kill: killed $vgpr33 killed $vgpr34
                                        ; kill: killed $vgpr58 killed $vgpr59
                                        ; kill: killed $vgpr47 killed $vgpr48
                                        ; kill: killed $vgpr37 killed $vgpr38
                                        ; kill: killed $vgpr62 killed $vgpr63
                                        ; kill: killed $vgpr51 killed $vgpr52
                                        ; kill: killed $vgpr41 killed $vgpr42
	global_load_dwordx2 v[33:34], v[64:65], off
	global_load_dwordx2 v[35:36], v[66:67], off
.LBB0_10:
	s_or_b64 exec, exec, s[4:5]
	s_mov_b32 s2, 0xaaaaaaab
	v_mul_hi_u32 v38, v4, s2
	s_waitcnt vmcnt(0)
	v_sub_f32_e32 v37, v6, v36
	v_add_f32_e32 v43, v5, v35
	s_mov_b32 s2, 0x3ee437d1
	v_lshrrev_b32_e32 v38, 1, v38
	v_lshl_add_u32 v38, v38, 1, v38
	v_mul_f32_e32 v52, 0xbf65296c, v37
	v_sub_u32_e32 v54, v4, v38
	v_fma_f32 v4, v43, s2, -v52
	v_add_f32_e32 v38, v2, v4
	v_sub_f32_e32 v4, v8, v34
	v_add_f32_e32 v45, v7, v33
	s_mov_b32 s2, 0xbf1a4643
	v_mul_f32_e32 v55, 0xbf4c4adb, v4
	v_fma_f32 v39, v45, s2, -v55
	v_add_f32_e32 v39, v38, v39
	v_sub_f32_e32 v38, v10, v30
	v_add_f32_e32 v46, v9, v29
	s_mov_b32 s2, 0xbf7ba420
	v_mul_f32_e32 v57, 0x3e3c28d5, v38
	v_fma_f32 v40, v46, s2, -v57
	v_add_f32_e32 v40, v39, v40
	v_sub_f32_e32 v39, v12, v32
	s_mov_b32 s2, 0xbe8c1d8e
	v_add_f32_e32 v47, v11, v31
	v_mul_f32_e32 v58, 0x3f763a35, v39
	v_fma_f32 v41, v47, s2, -v58
	v_add_f32_e32 v41, v40, v41
	v_sub_f32_e32 v40, v14, v28
	s_mov_b32 s2, 0x3f3d2fb0
	v_add_f32_e32 v48, v13, v27
	;; [unrolled: 6-line block ×5, first 2 shown]
	v_mul_f32_e32 v62, 0xbf06c442, v44
	v_fma_f32 v63, v51, s2, -v62
	v_mul_u32_u24_e32 v54, 0x4a6, v54
	v_add_f32_e32 v56, v63, v56
	v_lshlrev_b32_e32 v54, 2, v54
	s_and_saveexec_b64 s[2:3], s[0:1]
	s_cbranch_execz .LBB0_12
; %bb.11:
	v_mul_f32_e32 v64, 0xbf7ba420, v43
	v_mov_b32_e32 v65, v64
	v_mul_f32_e32 v66, 0x3f6eb680, v45
	v_fmac_f32_e32 v65, 0x3e3c28d5, v37
	v_mov_b32_e32 v67, v66
	v_add_f32_e32 v65, v2, v65
	v_fmac_f32_e32 v67, 0xbeb8f4ab, v4
	v_add_f32_e32 v65, v65, v67
	v_mul_f32_e32 v67, 0xbf59a7d5, v46
	v_mov_b32_e32 v68, v67
	v_fmac_f32_e32 v68, 0x3f06c442, v38
	v_add_f32_e32 v65, v65, v68
	v_mul_f32_e32 v68, 0x3f3d2fb0, v47
	v_fmac_f32_e32 v64, 0xbe3c28d5, v37
	v_mov_b32_e32 v69, v68
	v_add_f32_e32 v64, v2, v64
	v_fmac_f32_e32 v66, 0x3eb8f4ab, v4
	v_fmac_f32_e32 v69, 0xbf2c7751, v39
	v_add_f32_e32 v64, v64, v66
	v_fmac_f32_e32 v67, 0xbf06c442, v38
	v_add_f32_e32 v65, v65, v69
	v_mul_f32_e32 v69, 0xbf1a4643, v48
	v_add_f32_e32 v64, v64, v67
	v_fmac_f32_e32 v68, 0x3f2c7751, v39
	v_mul_f32_e32 v66, 0xbf59a7d5, v43
	v_mov_b32_e32 v70, v69
	v_add_f32_e32 v64, v64, v68
	v_fmac_f32_e32 v69, 0xbf4c4adb, v40
	v_mov_b32_e32 v67, v66
	v_mul_f32_e32 v68, 0x3ee437d1, v45
	v_fmac_f32_e32 v70, 0x3f4c4adb, v40
	v_add_f32_e32 v64, v69, v64
	v_fmac_f32_e32 v67, 0x3f06c442, v37
	v_mov_b32_e32 v69, v68
	v_add_f32_e32 v65, v70, v65
	v_mul_f32_e32 v70, 0x3ee437d1, v49
	v_add_f32_e32 v67, v2, v67
	v_fmac_f32_e32 v69, 0xbf65296c, v4
	v_mov_b32_e32 v71, v70
	v_fmac_f32_e32 v70, 0x3f65296c, v41
	v_add_f32_e32 v67, v67, v69
	v_mul_f32_e32 v69, 0x3dbcf732, v46
	v_fmac_f32_e32 v71, 0xbf65296c, v41
	v_add_f32_e32 v64, v70, v64
	v_mov_b32_e32 v70, v69
	v_add_f32_e32 v65, v71, v65
	v_mul_f32_e32 v71, 0xbe8c1d8e, v50
	v_fmac_f32_e32 v70, 0x3f7ee86f, v38
	v_mov_b32_e32 v72, v71
	v_fmac_f32_e32 v71, 0xbf763a35, v42
	v_add_f32_e32 v67, v67, v70
	v_mul_f32_e32 v70, 0xbf1a4643, v47
	v_fmac_f32_e32 v66, 0xbf06c442, v37
	v_fmac_f32_e32 v72, 0x3f763a35, v42
	v_add_f32_e32 v64, v71, v64
	v_mov_b32_e32 v71, v70
	v_add_f32_e32 v66, v2, v66
	v_fmac_f32_e32 v68, 0x3f65296c, v4
	v_add_f32_e32 v65, v72, v65
	v_mul_f32_e32 v72, 0x3dbcf732, v51
	v_fmac_f32_e32 v71, 0xbf4c4adb, v39
	v_add_f32_e32 v66, v66, v68
	v_fmac_f32_e32 v69, 0xbf7ee86f, v38
	v_mov_b32_e32 v73, v72
	v_fmac_f32_e32 v72, 0x3f7ee86f, v44
	v_add_f32_e32 v67, v67, v71
	v_mul_f32_e32 v71, 0x3f6eb680, v48
	v_add_f32_e32 v66, v66, v69
	v_fmac_f32_e32 v70, 0x3f4c4adb, v39
	v_mul_f32_e32 v68, 0xbf1a4643, v43
	v_add_f32_e32 v64, v72, v64
	v_mov_b32_e32 v72, v71
	v_add_f32_e32 v66, v66, v70
	v_fmac_f32_e32 v71, 0xbeb8f4ab, v40
	v_mov_b32_e32 v69, v68
	v_mul_f32_e32 v70, 0xbe8c1d8e, v45
	v_fmac_f32_e32 v72, 0x3eb8f4ab, v40
	v_add_f32_e32 v66, v71, v66
	v_fmac_f32_e32 v69, 0x3f4c4adb, v37
	v_mov_b32_e32 v71, v70
	v_fmac_f32_e32 v73, 0xbf7ee86f, v44
	v_add_f32_e32 v67, v72, v67
	v_mul_f32_e32 v72, 0xbf7ba420, v49
	v_add_f32_e32 v69, v2, v69
	v_fmac_f32_e32 v71, 0xbf763a35, v4
	v_add_f32_e32 v65, v73, v65
	v_mov_b32_e32 v73, v72
	v_fmac_f32_e32 v72, 0xbe3c28d5, v41
	v_add_f32_e32 v69, v69, v71
	v_mul_f32_e32 v71, 0x3f6eb680, v46
	v_fmac_f32_e32 v73, 0x3e3c28d5, v41
	v_add_f32_e32 v66, v72, v66
	v_mov_b32_e32 v72, v71
	v_add_f32_e32 v67, v73, v67
	v_mul_f32_e32 v73, 0x3f3d2fb0, v50
	v_fmac_f32_e32 v72, 0x3eb8f4ab, v38
	v_mov_b32_e32 v74, v73
	v_fmac_f32_e32 v73, 0x3f2c7751, v42
	v_add_f32_e32 v69, v69, v72
	v_mul_f32_e32 v72, 0xbf59a7d5, v47
	v_fmac_f32_e32 v68, 0xbf4c4adb, v37
	v_fmac_f32_e32 v74, 0xbf2c7751, v42
	v_add_f32_e32 v66, v73, v66
	v_mov_b32_e32 v73, v72
	v_add_f32_e32 v68, v2, v68
	v_fmac_f32_e32 v70, 0x3f763a35, v4
	v_add_f32_e32 v67, v74, v67
	v_mul_f32_e32 v74, 0xbe8c1d8e, v51
	v_fmac_f32_e32 v73, 0x3f06c442, v39
	v_add_f32_e32 v68, v68, v70
	v_fmac_f32_e32 v71, 0xbeb8f4ab, v38
	v_mov_b32_e32 v75, v74
	v_fmac_f32_e32 v74, 0xbf763a35, v44
	v_add_f32_e32 v69, v69, v73
	v_mul_f32_e32 v73, 0x3dbcf732, v48
	v_add_f32_e32 v68, v68, v71
	v_fmac_f32_e32 v72, 0xbf06c442, v39
	v_mul_f32_e32 v70, 0xbe8c1d8e, v43
	v_add_f32_e32 v66, v74, v66
	v_mov_b32_e32 v74, v73
	v_add_f32_e32 v68, v68, v72
	v_fmac_f32_e32 v73, 0x3f7ee86f, v40
	v_mov_b32_e32 v71, v70
	v_mul_f32_e32 v72, 0xbf59a7d5, v45
	v_fmac_f32_e32 v74, 0xbf7ee86f, v40
	v_add_f32_e32 v68, v73, v68
	v_fmac_f32_e32 v71, 0x3f763a35, v37
	v_mov_b32_e32 v73, v72
	v_fmac_f32_e32 v75, 0x3f763a35, v44
	v_add_f32_e32 v69, v74, v69
	v_mul_f32_e32 v74, 0x3f3d2fb0, v49
	v_add_f32_e32 v71, v2, v71
	v_fmac_f32_e32 v73, 0xbf06c442, v4
	v_add_f32_e32 v67, v75, v67
	;; [unrolled: 48-line block ×3, first 2 shown]
	v_mov_b32_e32 v77, v76
	v_fmac_f32_e32 v76, 0x3f7ee86f, v41
	v_add_f32_e32 v73, v73, v75
	v_mul_f32_e32 v75, 0xbe8c1d8e, v46
	v_fmac_f32_e32 v77, 0xbf7ee86f, v41
	v_add_f32_e32 v70, v76, v70
	v_mov_b32_e32 v76, v75
	v_add_f32_e32 v71, v77, v71
	v_mul_f32_e32 v77, 0x3f6eb680, v50
	v_fmac_f32_e32 v76, 0xbf763a35, v38
	v_mov_b32_e32 v78, v77
	v_fmac_f32_e32 v77, 0xbeb8f4ab, v42
	v_add_f32_e32 v73, v73, v76
	v_mul_f32_e32 v76, 0x3f6eb680, v47
	v_fmac_f32_e32 v78, 0x3eb8f4ab, v42
	v_add_f32_e32 v70, v77, v70
	v_mov_b32_e32 v77, v76
	v_add_f32_e32 v71, v78, v71
	v_mul_f32_e32 v78, 0xbf1a4643, v51
	v_fmac_f32_e32 v77, 0xbeb8f4ab, v39
	v_mov_b32_e32 v79, v78
	v_fmac_f32_e32 v78, 0xbf4c4adb, v44
	v_add_f32_e32 v73, v73, v77
	v_mul_f32_e32 v77, 0x3ee437d1, v48
	v_add_f32_e32 v70, v78, v70
	v_mov_b32_e32 v78, v77
	v_fmac_f32_e32 v78, 0x3f65296c, v40
	v_fmac_f32_e32 v79, 0x3f4c4adb, v44
	v_add_f32_e32 v73, v78, v73
	v_mul_f32_e32 v78, 0xbf59a7d5, v49
	v_add_f32_e32 v71, v79, v71
	v_mov_b32_e32 v79, v78
	v_fmac_f32_e32 v79, 0x3f06c442, v41
	v_add_f32_e32 v73, v79, v73
	v_mul_f32_e32 v79, 0xbf1a4643, v50
	v_mov_b32_e32 v80, v79
	v_fmac_f32_e32 v80, 0xbf4c4adb, v42
	v_add_f32_e32 v73, v80, v73
	v_mul_f32_e32 v80, 0x3f3d2fb0, v51
	v_mov_b32_e32 v81, v80
	v_mul_f32_e32 v63, 0x3ee437d1, v43
	v_fmac_f32_e32 v81, 0xbf2c7751, v44
	v_fmac_f32_e32 v72, 0xbf7ee86f, v37
	v_add_f32_e32 v73, v81, v73
	v_mul_f32_e32 v81, 0xbf1a4643, v45
	v_add_f32_e32 v72, v2, v72
	v_fmac_f32_e32 v74, 0xbe3c28d5, v4
	v_add_f32_e32 v52, v52, v63
	v_add_f32_e32 v72, v72, v74
	v_mul_f32_e32 v74, 0xbf7ba420, v46
	v_fmac_f32_e32 v75, 0x3f763a35, v38
	v_add_f32_e32 v52, v2, v52
	v_add_f32_e32 v55, v55, v81
	v_add_f32_e32 v72, v72, v75
	v_mul_f32_e32 v75, 0xbe8c1d8e, v47
	v_fmac_f32_e32 v76, 0x3eb8f4ab, v39
	v_add_f32_e32 v52, v52, v55
	;; [unrolled: 5-line block ×5, first 2 shown]
	v_add_f32_e32 v55, v60, v77
	v_add_f32_e32 v72, v79, v72
	v_mul_f32_e32 v79, 0xbf59a7d5, v51
	v_add_f32_e32 v52, v55, v52
	v_add_f32_e32 v55, v61, v78
	;; [unrolled: 1-line block ×5, first 2 shown]
	v_mul_f32_e32 v55, 0x3f3d2fb0, v43
	v_mov_b32_e32 v57, v55
	v_mul_f32_e32 v58, 0x3dbcf732, v45
	v_fmac_f32_e32 v57, 0x3f2c7751, v37
	v_mov_b32_e32 v59, v58
	v_fmac_f32_e32 v55, 0xbf2c7751, v37
	v_add_f32_e32 v57, v2, v57
	v_fmac_f32_e32 v59, 0x3f7ee86f, v4
	v_add_f32_e32 v55, v2, v55
	v_fmac_f32_e32 v58, 0xbf7ee86f, v4
	v_mul_f32_e32 v43, 0x3f6eb680, v43
	v_add_f32_e32 v57, v57, v59
	v_mul_f32_e32 v59, 0xbf1a4643, v46
	v_add_f32_e32 v55, v55, v58
	v_mov_b32_e32 v58, v43
	v_mov_b32_e32 v60, v59
	v_fmac_f32_e32 v58, 0x3eb8f4ab, v37
	v_fmac_f32_e32 v43, 0xbeb8f4ab, v37
	;; [unrolled: 1-line block ×3, first 2 shown]
	v_add_f32_e32 v58, v2, v58
	v_add_f32_e32 v37, v2, v43
	;; [unrolled: 1-line block ×4, first 2 shown]
	v_mul_f32_e32 v60, 0xbf7ba420, v47
	v_fmac_f32_e32 v59, 0xbf4c4adb, v38
	v_mul_f32_e32 v45, 0x3f3d2fb0, v45
	v_add_f32_e32 v2, v2, v7
	v_mov_b32_e32 v61, v60
	v_add_f32_e32 v55, v55, v59
	v_mov_b32_e32 v59, v45
	v_add_f32_e32 v2, v2, v9
	v_fmac_f32_e32 v61, 0x3e3c28d5, v39
	v_fmac_f32_e32 v59, 0x3f2c7751, v4
	v_mul_f32_e32 v46, 0x3ee437d1, v46
	v_add_f32_e32 v2, v2, v11
	v_add_f32_e32 v57, v57, v61
	v_mul_f32_e32 v61, 0xbf59a7d5, v48
	v_add_f32_e32 v58, v58, v59
	v_mov_b32_e32 v59, v46
	v_add_f32_e32 v2, v2, v13
	v_mov_b32_e32 v62, v61
	v_fmac_f32_e32 v59, 0x3f65296c, v38
	v_mul_f32_e32 v47, 0x3dbcf732, v47
	v_add_f32_e32 v2, v2, v15
	v_fmac_f32_e32 v62, 0xbf06c442, v40
	v_add_f32_e32 v58, v58, v59
	v_mov_b32_e32 v59, v47
	v_add_f32_e32 v2, v2, v17
	v_add_f32_e32 v57, v62, v57
	v_mul_f32_e32 v62, 0xbe8c1d8e, v49
	v_fmac_f32_e32 v59, 0x3f7ee86f, v39
	v_mul_f32_e32 v48, 0xbe8c1d8e, v48
	v_add_f32_e32 v2, v2, v19
	v_mov_b32_e32 v63, v62
	v_add_f32_e32 v58, v58, v59
	v_mov_b32_e32 v59, v48
	v_fmac_f32_e32 v45, 0xbf2c7751, v4
	v_add_f32_e32 v2, v2, v21
	v_fmac_f32_e32 v63, 0xbf763a35, v41
	v_fmac_f32_e32 v59, 0x3f763a35, v40
	v_mul_f32_e32 v49, 0xbf1a4643, v49
	v_add_f32_e32 v4, v37, v45
	v_fmac_f32_e32 v46, 0xbf65296c, v38
	v_add_f32_e32 v2, v2, v23
	v_add_f32_e32 v57, v63, v57
	v_mul_f32_e32 v63, 0x3ee437d1, v50
	v_add_f32_e32 v58, v59, v58
	v_mov_b32_e32 v59, v49
	v_add_f32_e32 v4, v4, v46
	v_fmac_f32_e32 v47, 0xbf7ee86f, v39
	v_add_f32_e32 v2, v2, v25
	v_mov_b32_e32 v74, v63
	v_fmac_f32_e32 v60, 0xbe3c28d5, v39
	v_fmac_f32_e32 v59, 0x3f4c4adb, v41
	v_mul_f32_e32 v50, 0xbf59a7d5, v50
	v_add_f32_e32 v4, v4, v47
	v_fmac_f32_e32 v48, 0xbf763a35, v40
	v_add_f32_e32 v2, v2, v27
	v_fmac_f32_e32 v74, 0xbf65296c, v42
	;; [unrolled: 2-line block ×3, first 2 shown]
	v_add_f32_e32 v58, v59, v58
	v_mov_b32_e32 v59, v50
	v_add_f32_e32 v4, v48, v4
	v_fmac_f32_e32 v49, 0xbf4c4adb, v41
	v_add_f32_e32 v2, v2, v31
	v_add_f32_e32 v57, v74, v57
	v_mul_f32_e32 v74, 0x3f6eb680, v51
	v_add_f32_e32 v55, v61, v55
	v_fmac_f32_e32 v62, 0x3f763a35, v41
	v_fmac_f32_e32 v59, 0x3f06c442, v42
	v_mul_f32_e32 v51, 0xbf7ba420, v51
	v_add_f32_e32 v4, v49, v4
	v_fmac_f32_e32 v50, 0xbf06c442, v42
	v_add_f32_e32 v2, v29, v2
	v_mov_b32_e32 v75, v74
	v_add_f32_e32 v55, v62, v55
	v_fmac_f32_e32 v63, 0x3f65296c, v42
	v_add_f32_e32 v58, v59, v58
	v_mov_b32_e32 v59, v51
	v_add_f32_e32 v4, v50, v4
	v_fmac_f32_e32 v51, 0xbe3c28d5, v44
	v_add_f32_e32 v2, v33, v2
	v_mul_u32_u24_e32 v37, 0x44, v53
	v_fmac_f32_e32 v80, 0x3f2c7751, v44
	v_fmac_f32_e32 v75, 0xbeb8f4ab, v44
	v_add_f32_e32 v55, v63, v55
	v_fmac_f32_e32 v74, 0x3eb8f4ab, v44
	v_fmac_f32_e32 v59, 0x3e3c28d5, v44
	v_add_f32_e32 v4, v51, v4
	v_add_f32_e32 v2, v35, v2
	v_add3_u32 v37, 0, v37, v54
	v_add_f32_e32 v72, v80, v72
	v_add_f32_e32 v57, v75, v57
	v_add_f32_e32 v55, v74, v55
	v_add_f32_e32 v58, v59, v58
	ds_write2_b32 v37, v2, v4 offset1:1
	ds_write2_b32 v37, v55, v52 offset0:2 offset1:3
	ds_write2_b32 v37, v72, v70 offset0:4 offset1:5
	;; [unrolled: 1-line block ×7, first 2 shown]
	ds_write_b32 v37, v58 offset:64
.LBB0_12:
	s_or_b64 exec, exec, s[2:3]
	v_sub_f32_e32 v67, v5, v35
	v_mul_f32_e32 v68, 0xbf65296c, v67
	v_sub_f32_e32 v61, v7, v33
	v_add_f32_e32 v66, v6, v36
	v_mov_b32_e32 v2, v68
	v_mul_f32_e32 v65, 0xbf4c4adb, v61
	v_fmac_f32_e32 v2, 0x3ee437d1, v66
	v_add_f32_e32 v60, v8, v34
	v_mov_b32_e32 v4, v65
	v_sub_f32_e32 v57, v9, v29
	v_add_f32_e32 v2, v3, v2
	v_fmac_f32_e32 v4, 0xbf1a4643, v60
	v_mul_f32_e32 v59, 0x3e3c28d5, v57
	v_add_f32_e32 v2, v2, v4
	v_add_f32_e32 v52, v10, v30
	v_mov_b32_e32 v4, v59
	v_sub_f32_e32 v50, v11, v31
	v_fmac_f32_e32 v4, 0xbf7ba420, v52
	v_mul_f32_e32 v51, 0x3f763a35, v50
	v_add_f32_e32 v2, v2, v4
	v_add_f32_e32 v49, v12, v32
	v_mov_b32_e32 v4, v51
	v_sub_f32_e32 v47, v13, v27
	;; [unrolled: 6-line block ×5, first 2 shown]
	v_fmac_f32_e32 v4, 0x3dbcf732, v25
	v_mul_f32_e32 v21, 0xbf06c442, v9
	v_add_f32_e32 v4, v4, v2
	v_add_f32_e32 v2, v20, v22
	v_mov_b32_e32 v5, v21
	v_fmac_f32_e32 v5, 0xbf59a7d5, v2
	v_add_f32_e32 v62, v5, v4
	v_lshlrev_b32_e32 v4, 2, v53
	v_add_u32_e32 v19, 0, v4
	v_add_u32_e32 v58, v19, v54
	v_add3_u32 v55, 0, v54, v4
	v_add_u32_e32 v15, 0x800, v58
	v_add_u32_e32 v7, 0xa00, v58
	;; [unrolled: 1-line block ×4, first 2 shown]
	s_waitcnt lgkmcnt(0)
	s_barrier
	ds_read2_b32 v[39:40], v15 offset0:83 offset1:168
	ds_read2_b32 v[41:42], v58 offset0:85 offset1:170
	;; [unrolled: 1-line block ×5, first 2 shown]
	v_add_u32_e32 v17, 0x400, v58
	ds_read_b32 v11, v55
	ds_read_b32 v63, v58 offset:4420
	ds_read2_b32 v[45:46], v17 offset0:169 offset1:254
	s_waitcnt lgkmcnt(0)
	s_barrier
	s_and_saveexec_b64 s[2:3], s[0:1]
	s_cbranch_execz .LBB0_14
; %bb.13:
	v_add_f32_e32 v6, v3, v6
	v_add_f32_e32 v6, v6, v8
	;; [unrolled: 1-line block ×14, first 2 shown]
	v_mul_f32_e32 v69, 0x3ee437d1, v66
	v_add_f32_e32 v6, v34, v6
	v_mul_f32_e32 v8, 0xbeb8f4ab, v67
	s_mov_b32 s5, 0x3f6eb680
	v_mul_f32_e32 v12, 0xbf2c7751, v67
	s_mov_b32 s4, 0x3f3d2fb0
	v_mul_f32_e32 v18, 0xbf7ee86f, v67
	s_mov_b32 s0, 0x3dbcf732
	v_mul_f32_e32 v22, 0xbf763a35, v67
	s_mov_b32 s1, 0xbe8c1d8e
	v_mul_f32_e32 v26, 0xbf4c4adb, v67
	s_mov_b32 s6, 0xbf1a4643
	v_mul_f32_e32 v30, 0xbf06c442, v67
	s_mov_b32 s11, 0xbf59a7d5
	v_mul_f32_e32 v34, 0xbe3c28d5, v67
	s_mov_b32 s7, 0xbf7ba420
	v_add_f32_e32 v6, v36, v6
	v_fma_f32 v10, v66, s5, -v8
	v_fmac_f32_e32 v8, 0x3f6eb680, v66
	v_fma_f32 v14, v66, s4, -v12
	v_fmac_f32_e32 v12, 0x3f3d2fb0, v66
	v_sub_f32_e32 v16, v69, v68
	v_fma_f32 v20, v66, s0, -v18
	v_fmac_f32_e32 v18, 0x3dbcf732, v66
	v_fma_f32 v24, v66, s1, -v22
	v_fmac_f32_e32 v22, 0xbe8c1d8e, v66
	;; [unrolled: 2-line block ×5, first 2 shown]
	v_add_f32_e32 v10, v3, v10
	v_add_f32_e32 v8, v3, v8
	;; [unrolled: 1-line block ×15, first 2 shown]
	v_mul_f32_e32 v34, 0xbf2c7751, v61
	v_fma_f32 v66, v60, s4, -v34
	v_fmac_f32_e32 v34, 0x3f3d2fb0, v60
	v_add_f32_e32 v8, v8, v34
	v_mul_f32_e32 v34, 0xbf7ee86f, v61
	v_mul_f32_e32 v70, 0xbf1a4643, v60
	v_add_f32_e32 v10, v10, v66
	v_fma_f32 v66, v60, s0, -v34
	v_fmac_f32_e32 v34, 0x3dbcf732, v60
	v_add_f32_e32 v12, v12, v34
	v_sub_f32_e32 v34, v70, v65
	v_add_f32_e32 v16, v16, v34
	v_mul_f32_e32 v34, 0xbe3c28d5, v61
	v_fma_f32 v65, v60, s7, -v34
	v_fmac_f32_e32 v34, 0xbf7ba420, v60
	v_add_f32_e32 v18, v18, v34
	v_mul_f32_e32 v34, 0x3f06c442, v61
	v_add_f32_e32 v20, v20, v65
	v_fma_f32 v65, v60, s11, -v34
	v_fmac_f32_e32 v34, 0xbf59a7d5, v60
	v_add_f32_e32 v22, v22, v34
	v_mul_f32_e32 v34, 0x3f763a35, v61
	v_add_f32_e32 v24, v24, v65
	v_fma_f32 v65, v60, s1, -v34
	v_fmac_f32_e32 v34, 0xbe8c1d8e, v60
	v_add_f32_e32 v26, v26, v34
	v_mul_f32_e32 v34, 0x3f65296c, v61
	s_mov_b32 s10, 0x3ee437d1
	v_add_f32_e32 v28, v28, v65
	v_fma_f32 v65, v60, s10, -v34
	v_fmac_f32_e32 v34, 0x3ee437d1, v60
	v_add_f32_e32 v30, v30, v34
	v_mul_f32_e32 v34, 0x3eb8f4ab, v61
	v_fma_f32 v61, v60, s5, -v34
	v_fmac_f32_e32 v34, 0x3f6eb680, v60
	v_add_f32_e32 v3, v3, v34
	v_mul_f32_e32 v34, 0xbf65296c, v57
	v_fma_f32 v60, v52, s10, -v34
	v_fmac_f32_e32 v34, 0x3ee437d1, v52
	v_add_f32_e32 v8, v8, v34
	v_mul_f32_e32 v34, 0xbf4c4adb, v57
	v_mul_f32_e32 v71, 0xbf7ba420, v52
	v_add_f32_e32 v10, v10, v60
	v_fma_f32 v60, v52, s6, -v34
	v_fmac_f32_e32 v34, 0xbf1a4643, v52
	v_add_f32_e32 v12, v12, v34
	v_sub_f32_e32 v34, v71, v59
	v_add_f32_e32 v16, v16, v34
	v_mul_f32_e32 v34, 0x3f763a35, v57
	v_fma_f32 v59, v52, s1, -v34
	v_fmac_f32_e32 v34, 0xbe8c1d8e, v52
	v_add_f32_e32 v18, v18, v34
	v_mul_f32_e32 v34, 0x3f2c7751, v57
	v_add_f32_e32 v20, v20, v59
	v_fma_f32 v59, v52, s4, -v34
	v_fmac_f32_e32 v34, 0x3f3d2fb0, v52
	v_add_f32_e32 v22, v22, v34
	v_mul_f32_e32 v34, 0xbeb8f4ab, v57
	v_add_f32_e32 v24, v24, v59
	v_fma_f32 v59, v52, s5, -v34
	v_fmac_f32_e32 v34, 0x3f6eb680, v52
	v_add_f32_e32 v26, v26, v34
	v_mul_f32_e32 v34, 0xbf7ee86f, v57
	v_add_f32_e32 v28, v28, v59
	v_fma_f32 v59, v52, s0, -v34
	v_fmac_f32_e32 v34, 0x3dbcf732, v52
	v_add_f32_e32 v30, v30, v34
	v_mul_f32_e32 v34, 0xbf06c442, v57
	v_fma_f32 v57, v52, s11, -v34
	v_fmac_f32_e32 v34, 0xbf59a7d5, v52
	v_add_f32_e32 v3, v3, v34
	v_mul_f32_e32 v34, 0xbf7ee86f, v50
	v_fma_f32 v52, v49, s0, -v34
	v_fmac_f32_e32 v34, 0x3dbcf732, v49
	v_add_f32_e32 v8, v8, v34
	v_mul_f32_e32 v34, 0xbe3c28d5, v50
	v_mul_f32_e32 v72, 0xbe8c1d8e, v49
	v_add_f32_e32 v10, v10, v52
	v_fma_f32 v52, v49, s7, -v34
	v_fmac_f32_e32 v34, 0xbf7ba420, v49
	v_add_f32_e32 v12, v12, v34
	v_sub_f32_e32 v34, v72, v51
	v_add_f32_e32 v16, v16, v34
	v_mul_f32_e32 v34, 0x3eb8f4ab, v50
	v_fma_f32 v51, v49, s5, -v34
	v_fmac_f32_e32 v34, 0x3f6eb680, v49
	v_add_f32_e32 v18, v18, v34
	v_mul_f32_e32 v34, 0xbf65296c, v50
	v_add_f32_e32 v20, v20, v51
	v_fma_f32 v51, v49, s10, -v34
	v_fmac_f32_e32 v34, 0x3ee437d1, v49
	v_add_f32_e32 v22, v22, v34
	v_mul_f32_e32 v34, 0xbf06c442, v50
	v_add_f32_e32 v24, v24, v51
	v_fma_f32 v51, v49, s11, -v34
	v_fmac_f32_e32 v34, 0xbf59a7d5, v49
	v_add_f32_e32 v26, v26, v34
	v_mul_f32_e32 v34, 0x3f4c4adb, v50
	;; [unrolled: 35-line block ×3, first 2 shown]
	v_add_f32_e32 v28, v48, v28
	v_fma_f32 v48, v35, s5, -v34
	v_fmac_f32_e32 v34, 0x3f6eb680, v35
	v_add_f32_e32 v30, v34, v30
	v_mul_f32_e32 v34, 0xbf4c4adb, v47
	v_fma_f32 v47, v35, s6, -v34
	v_fmac_f32_e32 v34, 0xbf1a4643, v35
	v_add_f32_e32 v3, v34, v3
	v_mul_f32_e32 v34, 0xbf4c4adb, v31
	v_mul_f32_e32 v74, 0x3f6eb680, v29
	v_fma_f32 v35, v29, s6, -v34
	v_fmac_f32_e32 v34, 0xbf1a4643, v29
	v_add_f32_e32 v8, v34, v8
	v_mul_f32_e32 v34, 0x3f763a35, v31
	v_sub_f32_e32 v33, v74, v33
	v_add_f32_e32 v10, v35, v10
	v_fma_f32 v35, v29, s1, -v34
	v_fmac_f32_e32 v34, 0xbe8c1d8e, v29
	v_add_f32_e32 v16, v33, v16
	v_mul_f32_e32 v33, 0xbf06c442, v31
	v_add_f32_e32 v12, v34, v12
	v_fma_f32 v34, v29, s11, -v33
	v_fmac_f32_e32 v33, 0xbf59a7d5, v29
	v_add_f32_e32 v18, v33, v18
	v_mul_f32_e32 v33, 0x3f7ee86f, v31
	v_add_f32_e32 v20, v34, v20
	v_fma_f32 v34, v29, s0, -v33
	v_fmac_f32_e32 v33, 0x3dbcf732, v29
	v_add_f32_e32 v22, v33, v22
	v_mul_f32_e32 v33, 0xbf2c7751, v31
	v_add_f32_e32 v24, v34, v24
	v_fma_f32 v34, v29, s4, -v33
	v_fmac_f32_e32 v33, 0x3f3d2fb0, v29
	v_add_f32_e32 v26, v33, v26
	v_mul_f32_e32 v33, 0xbe3c28d5, v31
	v_add_f32_e32 v28, v34, v28
	v_fma_f32 v34, v29, s7, -v33
	v_fmac_f32_e32 v33, 0xbf7ba420, v29
	v_mul_f32_e32 v31, 0x3f65296c, v31
	v_add_f32_e32 v30, v33, v30
	v_fma_f32 v33, v29, s10, -v31
	v_fmac_f32_e32 v31, 0x3ee437d1, v29
	v_mul_f32_e32 v29, 0xbf06c442, v23
	v_mul_f32_e32 v75, 0x3dbcf732, v25
	v_add_f32_e32 v3, v31, v3
	v_fma_f32 v31, v25, s11, -v29
	v_fmac_f32_e32 v29, 0xbf59a7d5, v25
	v_add_f32_e32 v8, v29, v8
	v_mul_f32_e32 v29, 0x3f65296c, v23
	v_sub_f32_e32 v27, v75, v27
	v_add_f32_e32 v10, v31, v10
	v_fma_f32 v31, v25, s10, -v29
	v_fmac_f32_e32 v29, 0x3ee437d1, v25
	v_add_f32_e32 v16, v27, v16
	v_mul_f32_e32 v27, 0x3f4c4adb, v23
	v_add_f32_e32 v12, v29, v12
	v_fma_f32 v29, v25, s6, -v27
	v_fmac_f32_e32 v27, 0xbf1a4643, v25
	v_add_f32_e32 v18, v27, v18
	v_mul_f32_e32 v27, 0xbeb8f4ab, v23
	;; [unrolled: 5-line block ×4, first 2 shown]
	v_add_f32_e32 v28, v29, v28
	v_fma_f32 v29, v25, s4, -v27
	v_fmac_f32_e32 v27, 0x3f3d2fb0, v25
	v_mul_f32_e32 v23, 0xbf763a35, v23
	v_add_f32_e32 v27, v27, v30
	v_fma_f32 v30, v25, s1, -v23
	v_fmac_f32_e32 v23, 0xbe8c1d8e, v25
	v_add_f32_e32 v3, v23, v3
	v_mul_f32_e32 v23, 0xbe3c28d5, v9
	v_mul_f32_e32 v76, 0xbf59a7d5, v2
	v_fma_f32 v25, v2, s7, -v23
	v_fmac_f32_e32 v23, 0xbf7ba420, v2
	v_add_f32_e32 v14, v14, v66
	v_add_f32_e32 v8, v23, v8
	v_mul_f32_e32 v23, 0x3eb8f4ab, v9
	v_sub_f32_e32 v21, v76, v21
	v_add_f32_e32 v14, v14, v60
	v_add_f32_e32 v10, v25, v10
	v_fma_f32 v25, v2, s5, -v23
	v_fmac_f32_e32 v23, 0x3f6eb680, v2
	v_add_f32_e32 v16, v21, v16
	v_mul_f32_e32 v21, 0x3f2c7751, v9
	v_add_f32_e32 v14, v14, v52
	v_add_f32_e32 v12, v23, v12
	v_fma_f32 v23, v2, s4, -v21
	v_fmac_f32_e32 v21, 0x3f3d2fb0, v2
	v_add_f32_e32 v14, v49, v14
	v_add_f32_e32 v18, v21, v18
	v_mul_f32_e32 v21, 0xbf4c4adb, v9
	v_add_f32_e32 v14, v35, v14
	v_add_f32_e32 v20, v23, v20
	v_fma_f32 v23, v2, s6, -v21
	v_fmac_f32_e32 v21, 0xbf1a4643, v2
	v_add_f32_e32 v32, v32, v65
	v_add_f32_e32 v36, v36, v61
	;; [unrolled: 1-line block ×4, first 2 shown]
	v_mul_f32_e32 v22, 0x3f65296c, v9
	v_add_f32_e32 v32, v32, v59
	v_add_f32_e32 v36, v36, v57
	;; [unrolled: 1-line block ×4, first 2 shown]
	v_fma_f32 v24, v2, s10, -v22
	v_fmac_f32_e32 v22, 0x3ee437d1, v2
	v_mul_f32_e32 v25, 0xbf763a35, v9
	v_add_f32_e32 v32, v32, v51
	v_add_f32_e32 v36, v36, v50
	;; [unrolled: 1-line block ×3, first 2 shown]
	v_fma_f32 v26, v2, s1, -v25
	v_fmac_f32_e32 v25, 0xbe8c1d8e, v2
	v_mul_f32_e32 v9, 0x3f7ee86f, v9
	v_add_f32_e32 v32, v48, v32
	v_add_f32_e32 v36, v47, v36
	;; [unrolled: 1-line block ×3, first 2 shown]
	v_fma_f32 v27, v2, s0, -v9
	v_fmac_f32_e32 v9, 0x3dbcf732, v2
	v_add_f32_e32 v32, v34, v32
	v_add_f32_e32 v33, v33, v36
	;; [unrolled: 1-line block ×3, first 2 shown]
	v_lshlrev_b32_e32 v3, 6, v53
	v_add_f32_e32 v29, v29, v32
	v_add_f32_e32 v30, v30, v33
	v_add3_u32 v3, v19, v3, v54
	v_add_f32_e32 v24, v24, v28
	v_add_f32_e32 v26, v26, v29
	;; [unrolled: 1-line block ×3, first 2 shown]
	ds_write2_b32 v3, v6, v10 offset1:1
	ds_write2_b32 v3, v14, v16 offset0:2 offset1:3
	ds_write2_b32 v3, v20, v23 offset0:4 offset1:5
	;; [unrolled: 1-line block ×7, first 2 shown]
	ds_write_b32 v3, v8 offset:64
.LBB0_14:
	s_or_b64 exec, exec, s[2:3]
	v_add_u32_e32 v57, 0x55, v53
	s_movk_i32 s0, 0xf1
	v_mul_lo_u16_sdwa v8, v57, s0 dst_sel:DWORD dst_unused:UNUSED_PAD src0_sel:BYTE_0 src1_sel:DWORD
	v_lshrrev_b16_e32 v18, 12, v8
	v_add_u32_e32 v61, 0xaa, v53
	v_mul_lo_u16_e32 v8, 17, v18
	v_mul_lo_u16_sdwa v3, v53, s0 dst_sel:DWORD dst_unused:UNUSED_PAD src0_sel:BYTE_0 src1_sel:DWORD
	v_sub_u16_e32 v19, v57, v8
	v_mul_lo_u16_sdwa v8, v61, s0 dst_sel:DWORD dst_unused:UNUSED_PAD src0_sel:BYTE_0 src1_sel:DWORD
	v_lshrrev_b16_e32 v12, 12, v3
	v_lshrrev_b16_e32 v20, 12, v8
	v_mul_lo_u16_e32 v3, 17, v12
	v_mul_lo_u16_e32 v8, 17, v20
	v_add_u32_e32 v2, 0xff, v53
	v_sub_u16_e32 v16, v53, v3
	v_mov_b32_e32 v3, 3
	v_sub_u16_e32 v66, v61, v8
	s_mov_b32 s0, 0xf0f1
	v_lshlrev_b32_sdwa v10, v3, v16 dst_sel:DWORD dst_unused:UNUSED_PAD src0_sel:DWORD src1_sel:BYTE_0
	v_lshlrev_b32_sdwa v14, v3, v19 dst_sel:DWORD dst_unused:UNUSED_PAD src0_sel:DWORD src1_sel:BYTE_0
	;; [unrolled: 1-line block ×3, first 2 shown]
	v_mul_u32_u24_sdwa v3, v2, s0 dst_sel:DWORD dst_unused:UNUSED_PAD src0_sel:WORD_0 src1_sel:DWORD
	v_lshrrev_b32_e32 v67, 20, v3
	v_mul_lo_u16_e32 v3, 17, v67
	v_add_u32_e32 v6, 0x1a9, v53
	v_sub_u16_e32 v68, v2, v3
	s_waitcnt lgkmcnt(0)
	s_barrier
	v_lshlrev_b32_e32 v26, 3, v68
	global_load_dwordx2 v[23:24], v10, s[8:9]
	global_load_dwordx2 v[21:22], v14, s[8:9]
	global_load_dwordx2 v[8:9], v25, s[8:9]
	global_load_dwordx2 v[2:3], v26, s[8:9]
	v_mul_u32_u24_sdwa v14, v6, s0 dst_sel:DWORD dst_unused:UNUSED_PAD src0_sel:WORD_0 src1_sel:DWORD
	v_add_u32_e32 v60, 0x154, v53
	v_lshrrev_b32_e32 v71, 20, v14
	v_add_u32_e32 v59, 0x1fe, v53
	v_mul_u32_u24_sdwa v10, v60, s0 dst_sel:DWORD dst_unused:UNUSED_PAD src0_sel:WORD_0 src1_sel:DWORD
	v_mul_lo_u16_e32 v14, 17, v71
	v_lshrrev_b32_e32 v69, 20, v10
	v_sub_u16_e32 v72, v6, v14
	v_mul_u32_u24_sdwa v14, v59, s0 dst_sel:DWORD dst_unused:UNUSED_PAD src0_sel:WORD_0 src1_sel:DWORD
	v_mul_lo_u16_e32 v10, 17, v69
	v_lshrrev_b32_e32 v73, 20, v14
	v_sub_u16_e32 v70, v60, v10
	v_mul_lo_u16_e32 v14, 17, v73
	v_lshlrev_b32_e32 v10, 3, v70
	v_sub_u16_e32 v74, v59, v14
	v_lshlrev_b32_e32 v6, 3, v72
	v_lshlrev_b32_e32 v14, 3, v74
	global_load_dwordx2 v[35:36], v10, s[8:9]
	global_load_dwordx2 v[33:34], v6, s[8:9]
	;; [unrolled: 1-line block ×3, first 2 shown]
	ds_read2_b32 v[51:52], v15 offset0:83 offset1:168
	ds_read2_b32 v[29:30], v58 offset0:85 offset1:170
	;; [unrolled: 1-line block ×6, first 2 shown]
	ds_read_b32 v10, v55
	ds_read_b32 v65, v58 offset:4420
	s_movk_i32 s0, 0x88
	v_mad_u32_u24 v12, v12, s0, 0
	s_waitcnt vmcnt(0) lgkmcnt(0)
	s_barrier
	v_mul_f32_e32 v6, v51, v24
	v_mul_f32_e32 v7, v52, v22
	v_fmac_f32_e32 v7, v40, v21
	v_mul_f32_e32 v14, v50, v3
	v_fmac_f32_e32 v6, v39, v23
	v_sub_f32_e32 v79, v41, v7
	v_fmac_f32_e32 v14, v5, v2
	v_sub_f32_e32 v78, v11, v6
	v_sub_f32_e32 v81, v43, v14
	v_fma_f32 v11, v11, 2.0, -v78
	v_mul_f32_e32 v13, v49, v9
	v_fmac_f32_e32 v13, v4, v8
	v_sub_f32_e32 v80, v42, v13
	v_fma_f32 v41, v41, 2.0, -v79
	v_fma_f32 v42, v42, 2.0, -v80
	v_mul_f32_e32 v75, v47, v36
	v_mul_f32_e32 v76, v48, v34
	v_fmac_f32_e32 v76, v38, v33
	v_sub_f32_e32 v7, v45, v76
	v_fma_f32 v6, v45, 2.0, -v7
	v_mov_b32_e32 v45, 2
	v_lshlrev_b32_sdwa v16, v45, v16 dst_sel:DWORD dst_unused:UNUSED_PAD src0_sel:DWORD src1_sel:BYTE_0
	v_mul_f32_e32 v77, v65, v32
	v_fmac_f32_e32 v75, v37, v35
	v_fma_f32 v76, v43, 2.0, -v81
	v_add3_u32 v43, v12, v16, v54
	v_fmac_f32_e32 v77, v63, v31
	v_sub_f32_e32 v75, v44, v75
	ds_write2_b32 v43, v11, v78 offset1:17
	v_mad_u32_u24 v11, v18, s0, 0
	v_lshlrev_b32_sdwa v12, v45, v19 dst_sel:DWORD dst_unused:UNUSED_PAD src0_sel:DWORD src1_sel:BYTE_0
	v_sub_f32_e32 v14, v46, v77
	v_fma_f32 v77, v44, 2.0, -v75
	v_add3_u32 v44, v11, v12, v54
	v_mad_u32_u24 v11, v20, s0, 0
	v_lshlrev_b32_sdwa v12, v45, v66 dst_sel:DWORD dst_unused:UNUSED_PAD src0_sel:DWORD src1_sel:BYTE_0
	v_add3_u32 v45, v11, v12, v54
	v_mad_u32_u24 v11, v67, s0, 0
	v_lshlrev_b32_e32 v12, 2, v68
	v_fma_f32 v13, v46, 2.0, -v14
	v_add3_u32 v46, v11, v12, v54
	v_mad_u32_u24 v11, v69, s0, 0
	v_lshlrev_b32_e32 v12, 2, v70
	v_add3_u32 v66, v11, v12, v54
	v_mad_u32_u24 v11, v71, s0, 0
	v_lshlrev_b32_e32 v12, 2, v72
	;; [unrolled: 3-line block ×3, first 2 shown]
	v_add3_u32 v68, v11, v12, v54
	ds_write2_b32 v44, v41, v79 offset1:17
	ds_write2_b32 v45, v42, v80 offset1:17
	;; [unrolled: 1-line block ×6, first 2 shown]
	s_waitcnt lgkmcnt(0)
	s_barrier
	ds_read2_b32 v[11:12], v58 offset0:85 offset1:238
	ds_read2_b32 v[19:20], v17 offset0:67 offset1:220
	;; [unrolled: 1-line block ×4, first 2 shown]
	ds_read_b32 v41, v55
	ds_read_b32 v42, v58 offset:4148
	s_movk_i32 s0, 0x44
	v_cmp_gt_u32_e64 s[0:1], s0, v53
	s_and_saveexec_b64 s[2:3], s[0:1]
	s_cbranch_execz .LBB0_16
; %bb.15:
	v_add_u32_e32 v6, 0x280, v58
	v_add_u32_e32 v13, 0xa00, v58
	ds_read2_b32 v[6:7], v6 offset0:10 offset1:248
	ds_read2_b32 v[13:14], v13 offset0:6 offset1:244
	ds_read_b32 v56, v58 offset:4488
.LBB0_16:
	s_or_b64 exec, exec, s[2:3]
	v_mul_f32_e32 v24, v39, v24
	v_mul_f32_e32 v22, v40, v22
	;; [unrolled: 1-line block ×4, first 2 shown]
	v_fma_f32 v23, v51, v23, -v24
	v_fma_f32 v21, v52, v21, -v22
	;; [unrolled: 1-line block ×4, first 2 shown]
	v_mul_f32_e32 v3, v37, v36
	v_mul_f32_e32 v5, v38, v34
	v_mul_f32_e32 v8, v63, v32
	v_fma_f32 v3, v47, v35, -v3
	v_fma_f32 v5, v48, v33, -v5
	;; [unrolled: 1-line block ×3, first 2 shown]
	v_sub_f32_e32 v9, v10, v23
	v_sub_f32_e32 v21, v29, v21
	;; [unrolled: 1-line block ×3, first 2 shown]
	v_fma_f32 v10, v10, 2.0, -v9
	v_fma_f32 v22, v29, 2.0, -v21
	;; [unrolled: 1-line block ×3, first 2 shown]
	v_sub_f32_e32 v29, v27, v2
	v_sub_f32_e32 v30, v28, v3
	v_sub_f32_e32 v3, v25, v5
	v_sub_f32_e32 v5, v26, v8
	v_add_u32_e32 v8, 0x400, v58
	v_fma_f32 v27, v27, 2.0, -v29
	v_fma_f32 v28, v28, 2.0, -v30
	v_fma_f32 v2, v25, 2.0, -v3
	v_fma_f32 v4, v26, 2.0, -v5
	s_waitcnt lgkmcnt(0)
	s_barrier
	ds_write2_b32 v43, v10, v9 offset1:17
	ds_write2_b32 v44, v22, v21 offset1:17
	;; [unrolled: 1-line block ×7, first 2 shown]
	s_waitcnt lgkmcnt(0)
	s_barrier
	ds_read2_b32 v[21:22], v8 offset0:67 offset1:220
	v_add_u32_e32 v8, 0x800, v58
	ds_read2_b32 v[23:24], v8 offset0:49 offset1:202
	v_add_u32_e32 v8, 0xc00, v58
	ds_read2_b32 v[9:10], v58 offset0:85 offset1:238
	ds_read2_b32 v[25:26], v8 offset0:31 offset1:184
	ds_read_b32 v27, v55
	ds_read_b32 v44, v58 offset:4148
	s_and_saveexec_b64 s[2:3], s[0:1]
	s_cbranch_execz .LBB0_18
; %bb.17:
	v_add_u32_e32 v2, 0x280, v58
	v_add_u32_e32 v4, 0xa00, v58
	ds_read2_b32 v[2:3], v2 offset0:10 offset1:248
	ds_read2_b32 v[4:5], v4 offset0:6 offset1:244
	ds_read_b32 v62, v58 offset:4488
.LBB0_18:
	s_or_b64 exec, exec, s[2:3]
	s_movk_i32 s2, 0xf1
	v_mul_lo_u16_sdwa v8, v53, s2 dst_sel:DWORD dst_unused:UNUSED_PAD src0_sel:BYTE_0 src1_sel:DWORD
	v_lshrrev_b16_e32 v79, 13, v8
	v_mul_lo_u16_e32 v8, 34, v79
	v_sub_u16_e32 v8, v53, v8
	v_mov_b32_e32 v30, 5
	v_mul_lo_u16_sdwa v29, v57, s2 dst_sel:DWORD dst_unused:UNUSED_PAD src0_sel:BYTE_0 src1_sel:DWORD
	v_lshlrev_b32_sdwa v28, v30, v8 dst_sel:DWORD dst_unused:UNUSED_PAD src0_sel:DWORD src1_sel:BYTE_0
	v_lshrrev_b16_e32 v80, 13, v29
	global_load_dwordx4 v[45:48], v28, s[8:9] offset:136
	global_load_dwordx4 v[49:52], v28, s[8:9] offset:152
	v_mul_lo_u16_e32 v28, 34, v80
	v_sub_u16_e32 v31, v57, v28
	v_lshlrev_b32_sdwa v28, v30, v31 dst_sel:DWORD dst_unused:UNUSED_PAD src0_sel:DWORD src1_sel:BYTE_0
	global_load_dwordx4 v[63:66], v28, s[8:9] offset:136
	global_load_dwordx4 v[67:70], v28, s[8:9] offset:152
	v_mul_lo_u16_sdwa v28, v61, s2 dst_sel:DWORD dst_unused:UNUSED_PAD src0_sel:BYTE_0 src1_sel:DWORD
	v_lshrrev_b16_e32 v28, 13, v28
	v_mul_lo_u16_e32 v29, 34, v28
	v_sub_u16_e32 v29, v61, v29
	v_lshlrev_b32_sdwa v30, v30, v29 dst_sel:DWORD dst_unused:UNUSED_PAD src0_sel:DWORD src1_sel:BYTE_0
	global_load_dwordx4 v[71:74], v30, s[8:9] offset:136
	global_load_dwordx4 v[75:78], v30, s[8:9] offset:152
	v_mov_b32_e32 v43, 2
	v_lshlrev_b32_sdwa v81, v43, v8 dst_sel:DWORD dst_unused:UNUSED_PAD src0_sel:DWORD src1_sel:BYTE_0
	v_lshlrev_b32_sdwa v82, v43, v31 dst_sel:DWORD dst_unused:UNUSED_PAD src0_sel:DWORD src1_sel:BYTE_0
	s_movk_i32 s4, 0x2a8
	s_waitcnt vmcnt(0) lgkmcnt(0)
	s_barrier
	v_mul_f32_e32 v35, v22, v48
	v_mul_f32_e32 v34, v20, v48
	;; [unrolled: 1-line block ×6, first 2 shown]
	v_fmac_f32_e32 v35, v20, v47
	v_fma_f32 v34, v22, v47, -v34
	v_fmac_f32_e32 v37, v18, v49
	v_mul_f32_e32 v33, v12, v46
	v_mul_f32_e32 v47, v13, v74
	;; [unrolled: 1-line block ×3, first 2 shown]
	v_fmac_f32_e32 v36, v12, v45
	v_mul_f32_e32 v22, v4, v74
	v_fma_f32 v38, v24, v49, -v38
	v_fmac_f32_e32 v39, v16, v51
	v_mul_f32_e32 v24, v5, v76
	v_fma_f32 v18, v4, v73, -v47
	v_add_f32_e32 v4, v35, v37
	v_mul_f32_e32 v30, v21, v64
	v_fma_f32 v33, v10, v45, -v33
	v_fma_f32 v40, v26, v51, -v40
	v_mul_f32_e32 v49, v14, v76
	v_fmac_f32_e32 v22, v13, v73
	v_fmac_f32_e32 v24, v14, v75
	v_sub_f32_e32 v13, v36, v35
	v_sub_f32_e32 v14, v39, v37
	v_fma_f32 v4, -0.5, v4, v41
	v_mul_f32_e32 v46, v19, v64
	v_mul_f32_e32 v48, v17, v66
	;; [unrolled: 1-line block ×3, first 2 shown]
	v_fmac_f32_e32 v30, v19, v63
	v_fma_f32 v19, v5, v75, -v49
	v_sub_f32_e32 v5, v33, v40
	v_add_f32_e32 v13, v13, v14
	v_mov_b32_e32 v14, v4
	v_mul_f32_e32 v8, v23, v66
	v_mul_f32_e32 v45, v7, v72
	v_fma_f32 v12, v23, v65, -v48
	v_fmac_f32_e32 v20, v7, v71
	v_sub_f32_e32 v7, v34, v38
	v_add_f32_e32 v23, v36, v39
	v_fmac_f32_e32 v4, 0x3f737871, v5
	v_fmac_f32_e32 v14, 0xbf737871, v5
	v_mul_f32_e32 v31, v25, v68
	v_fmac_f32_e32 v8, v17, v65
	v_fma_f32 v17, v3, v71, -v45
	v_add_f32_e32 v3, v41, v36
	v_fmac_f32_e32 v41, -0.5, v23
	v_fmac_f32_e32 v4, 0x3f167918, v7
	v_fmac_f32_e32 v14, 0xbf167918, v7
	v_mul_f32_e32 v50, v15, v68
	v_fmac_f32_e32 v31, v15, v67
	v_fmac_f32_e32 v4, 0x3e9e377a, v13
	;; [unrolled: 1-line block ×3, first 2 shown]
	v_mov_b32_e32 v13, v41
	v_mul_f32_e32 v52, v42, v70
	v_fma_f32 v15, v25, v67, -v50
	v_fmac_f32_e32 v13, 0x3f737871, v7
	v_sub_f32_e32 v23, v35, v36
	v_sub_f32_e32 v25, v37, v39
	v_fmac_f32_e32 v41, 0xbf737871, v7
	v_add_f32_e32 v7, v8, v31
	v_mul_f32_e32 v32, v44, v70
	v_fma_f32 v10, v21, v63, -v46
	v_fma_f32 v16, v44, v69, -v52
	v_fmac_f32_e32 v13, 0xbf167918, v5
	v_add_f32_e32 v23, v23, v25
	v_fmac_f32_e32 v41, 0x3f167918, v5
	v_fma_f32 v7, -0.5, v7, v11
	v_fmac_f32_e32 v32, v42, v69
	v_fmac_f32_e32 v13, 0x3e9e377a, v23
	;; [unrolled: 1-line block ×3, first 2 shown]
	v_sub_f32_e32 v23, v10, v16
	v_mov_b32_e32 v42, v7
	v_fmac_f32_e32 v42, 0xbf737871, v23
	v_sub_f32_e32 v25, v12, v15
	v_sub_f32_e32 v44, v30, v8
	;; [unrolled: 1-line block ×3, first 2 shown]
	v_fmac_f32_e32 v7, 0x3f737871, v23
	v_fmac_f32_e32 v42, 0xbf167918, v25
	v_add_f32_e32 v44, v44, v45
	v_fmac_f32_e32 v7, 0x3f167918, v25
	v_fmac_f32_e32 v42, 0x3e9e377a, v44
	;; [unrolled: 1-line block ×3, first 2 shown]
	v_add_f32_e32 v44, v30, v32
	v_add_f32_e32 v5, v11, v30
	v_fmac_f32_e32 v11, -0.5, v44
	v_mov_b32_e32 v44, v11
	v_add_f32_e32 v3, v3, v35
	v_fmac_f32_e32 v44, 0x3f737871, v25
	v_fmac_f32_e32 v11, 0xbf737871, v25
	v_add_f32_e32 v3, v3, v37
	v_fmac_f32_e32 v44, 0xbf167918, v23
	v_fmac_f32_e32 v11, 0x3f167918, v23
	v_mad_u32_u24 v23, v79, s4, 0
	v_add_f32_e32 v3, v3, v39
	v_add_f32_e32 v5, v5, v8
	v_add3_u32 v25, v23, v81, v54
	v_mul_f32_e32 v26, v62, v78
	v_mul_f32_e32 v51, v56, v78
	v_add_f32_e32 v5, v5, v31
	v_sub_f32_e32 v45, v8, v30
	v_sub_f32_e32 v46, v31, v32
	ds_write2_b32 v25, v3, v14 offset1:34
	ds_write2_b32 v25, v13, v41 offset0:68 offset1:102
	ds_write_b32 v25, v4 offset:544
	v_mad_u32_u24 v3, v80, s4, 0
	v_fmac_f32_e32 v26, v56, v77
	v_fma_f32 v21, v62, v77, -v51
	v_add_f32_e32 v5, v5, v32
	v_add_f32_e32 v45, v45, v46
	v_add3_u32 v41, v3, v82, v54
	v_fmac_f32_e32 v44, 0x3e9e377a, v45
	v_fmac_f32_e32 v11, 0x3e9e377a, v45
	ds_write2_b32 v41, v5, v42 offset1:34
	ds_write2_b32 v41, v44, v11 offset0:68 offset1:102
	ds_write_b32 v41, v7 offset:544
	s_and_saveexec_b64 s[2:3], s[0:1]
	s_cbranch_execz .LBB0_20
; %bb.19:
	v_add_f32_e32 v5, v20, v26
	v_fma_f32 v5, -0.5, v5, v6
	v_sub_f32_e32 v3, v22, v20
	v_sub_f32_e32 v4, v24, v26
	;; [unrolled: 1-line block ×3, first 2 shown]
	v_mov_b32_e32 v11, v5
	v_add_f32_e32 v3, v3, v4
	v_sub_f32_e32 v4, v17, v21
	v_fmac_f32_e32 v11, 0xbf737871, v7
	v_fmac_f32_e32 v5, 0x3f737871, v7
	;; [unrolled: 1-line block ×6, first 2 shown]
	v_sub_f32_e32 v3, v20, v22
	v_sub_f32_e32 v13, v26, v24
	v_add_f32_e32 v3, v3, v13
	v_add_f32_e32 v13, v22, v24
	v_fma_f32 v13, -0.5, v13, v6
	v_mov_b32_e32 v14, v13
	v_fmac_f32_e32 v14, 0x3f737871, v4
	v_fmac_f32_e32 v13, 0xbf737871, v4
	;; [unrolled: 1-line block ×6, first 2 shown]
	v_add_f32_e32 v3, v6, v20
	v_add_f32_e32 v3, v3, v22
	v_add_f32_e32 v3, v3, v24
	v_mad_u32_u24 v4, v28, s4, 0
	v_lshlrev_b32_sdwa v6, v43, v29 dst_sel:DWORD dst_unused:UNUSED_PAD src0_sel:DWORD src1_sel:BYTE_0
	v_add_f32_e32 v3, v3, v26
	v_add3_u32 v4, v4, v6, v54
	ds_write2_b32 v4, v3, v13 offset1:34
	ds_write2_b32 v4, v5, v11 offset0:68 offset1:102
	ds_write_b32 v4, v14 offset:544
.LBB0_20:
	s_or_b64 exec, exec, s[2:3]
	v_add_f32_e32 v3, v27, v33
	v_add_f32_e32 v3, v3, v34
	;; [unrolled: 1-line block ×5, first 2 shown]
	v_fma_f32 v43, -0.5, v3, v27
	v_sub_f32_e32 v3, v36, v39
	v_mov_b32_e32 v36, v43
	v_fmac_f32_e32 v36, 0x3f737871, v3
	v_sub_f32_e32 v4, v35, v37
	v_sub_f32_e32 v5, v33, v34
	;; [unrolled: 1-line block ×3, first 2 shown]
	v_fmac_f32_e32 v43, 0xbf737871, v3
	v_fmac_f32_e32 v36, 0x3f167918, v4
	v_add_f32_e32 v5, v5, v6
	v_fmac_f32_e32 v43, 0xbf167918, v4
	v_fmac_f32_e32 v36, 0x3e9e377a, v5
	;; [unrolled: 1-line block ×3, first 2 shown]
	v_add_f32_e32 v5, v33, v40
	v_fmac_f32_e32 v27, -0.5, v5
	v_mov_b32_e32 v35, v27
	v_fmac_f32_e32 v35, 0xbf737871, v4
	v_fmac_f32_e32 v27, 0x3f737871, v4
	;; [unrolled: 1-line block ×4, first 2 shown]
	v_add_f32_e32 v3, v9, v10
	v_add_f32_e32 v3, v3, v12
	;; [unrolled: 1-line block ×3, first 2 shown]
	v_sub_f32_e32 v5, v34, v33
	v_add_f32_e32 v33, v3, v16
	v_add_f32_e32 v3, v12, v15
	v_sub_f32_e32 v6, v38, v40
	v_fma_f32 v34, -0.5, v3, v9
	v_add_f32_e32 v5, v5, v6
	v_sub_f32_e32 v3, v30, v32
	v_mov_b32_e32 v30, v34
	v_fmac_f32_e32 v35, 0x3e9e377a, v5
	v_fmac_f32_e32 v27, 0x3e9e377a, v5
	;; [unrolled: 1-line block ×3, first 2 shown]
	v_sub_f32_e32 v4, v8, v31
	v_sub_f32_e32 v5, v10, v12
	;; [unrolled: 1-line block ×3, first 2 shown]
	v_fmac_f32_e32 v34, 0xbf737871, v3
	v_fmac_f32_e32 v30, 0x3f167918, v4
	v_add_f32_e32 v5, v5, v6
	v_fmac_f32_e32 v34, 0xbf167918, v4
	v_fmac_f32_e32 v30, 0x3e9e377a, v5
	;; [unrolled: 1-line block ×3, first 2 shown]
	v_add_f32_e32 v5, v10, v16
	v_fmac_f32_e32 v9, -0.5, v5
	v_mov_b32_e32 v31, v9
	v_fmac_f32_e32 v31, 0xbf737871, v4
	v_sub_f32_e32 v5, v12, v10
	v_sub_f32_e32 v6, v15, v16
	v_fmac_f32_e32 v9, 0x3f737871, v4
	v_fmac_f32_e32 v31, 0x3f167918, v3
	v_add_f32_e32 v5, v5, v6
	v_fmac_f32_e32 v9, 0xbf167918, v3
	v_fmac_f32_e32 v31, 0x3e9e377a, v5
	;; [unrolled: 1-line block ×3, first 2 shown]
	v_add_u32_e32 v5, 0x400, v58
	s_waitcnt lgkmcnt(0)
	s_barrier
	ds_read2_b32 v[10:11], v5 offset0:169 offset1:254
	v_add_u32_e32 v5, 0x800, v58
	v_add_u32_e32 v3, 0x200, v58
	ds_read2_b32 v[12:13], v5 offset0:83 offset1:168
	v_add_u32_e32 v5, 0xa00, v58
	v_add_u32_e32 v14, 0xc00, v58
	ds_read2_b32 v[7:8], v58 offset0:85 offset1:170
	ds_read2_b32 v[3:4], v3 offset0:127 offset1:212
	ds_read2_b32 v[5:6], v5 offset0:125 offset1:210
	ds_read2_b32 v[14:15], v14 offset0:167 offset1:252
	ds_read_b32 v16, v55
	ds_read_b32 v23, v58 offset:4420
	s_waitcnt lgkmcnt(0)
	s_barrier
	ds_write2_b32 v25, v42, v36 offset1:34
	ds_write2_b32 v25, v35, v27 offset0:68 offset1:102
	ds_write_b32 v25, v43 offset:544
	ds_write2_b32 v41, v33, v30 offset1:34
	ds_write2_b32 v41, v31, v9 offset0:68 offset1:102
	ds_write_b32 v41, v34 offset:544
	s_and_saveexec_b64 s[2:3], s[0:1]
	s_cbranch_execz .LBB0_22
; %bb.21:
	v_add_f32_e32 v25, v18, v19
	v_fma_f32 v25, -0.5, v25, v2
	v_sub_f32_e32 v20, v20, v26
	v_mov_b32_e32 v26, v25
	v_fmac_f32_e32 v26, 0x3f737871, v20
	v_sub_f32_e32 v22, v22, v24
	v_sub_f32_e32 v24, v17, v18
	;; [unrolled: 1-line block ×3, first 2 shown]
	v_fmac_f32_e32 v25, 0xbf737871, v20
	v_fmac_f32_e32 v26, 0x3f167918, v22
	v_add_f32_e32 v24, v24, v27
	v_fmac_f32_e32 v25, 0xbf167918, v22
	v_fmac_f32_e32 v26, 0x3e9e377a, v24
	;; [unrolled: 1-line block ×3, first 2 shown]
	v_add_f32_e32 v24, v17, v21
	v_add_f32_e32 v9, v2, v17
	v_fmac_f32_e32 v2, -0.5, v24
	v_mov_b32_e32 v24, v2
	v_add_f32_e32 v9, v9, v18
	v_fmac_f32_e32 v24, 0xbf737871, v22
	v_sub_f32_e32 v17, v18, v17
	v_sub_f32_e32 v18, v19, v21
	v_fmac_f32_e32 v2, 0x3f737871, v22
	v_fmac_f32_e32 v24, 0x3f167918, v20
	v_add_f32_e32 v17, v17, v18
	v_fmac_f32_e32 v2, 0xbf167918, v20
	s_movk_i32 s0, 0x2a8
	v_mov_b32_e32 v18, 2
	v_add_f32_e32 v9, v9, v19
	v_fmac_f32_e32 v24, 0x3e9e377a, v17
	v_fmac_f32_e32 v2, 0x3e9e377a, v17
	v_mad_u32_u24 v17, v28, s0, 0
	v_lshlrev_b32_sdwa v18, v18, v29 dst_sel:DWORD dst_unused:UNUSED_PAD src0_sel:DWORD src1_sel:BYTE_0
	v_add_f32_e32 v9, v9, v21
	v_add3_u32 v17, v17, v18, v54
	ds_write2_b32 v17, v9, v26 offset1:34
	ds_write2_b32 v17, v24, v2 offset0:68 offset1:102
	ds_write_b32 v17, v25 offset:544
.LBB0_22:
	s_or_b64 exec, exec, s[2:3]
	s_waitcnt lgkmcnt(0)
	s_barrier
	s_and_saveexec_b64 s[0:1], vcc
	s_cbranch_execz .LBB0_24
; %bb.23:
	v_mul_u32_u24_e32 v2, 6, v57
	v_lshlrev_b32_e32 v2, 3, v2
	global_load_dwordx4 v[17:20], v2, s[8:9] offset:1224
	global_load_dwordx4 v[24:27], v2, s[8:9] offset:1256
	;; [unrolled: 1-line block ×3, first 2 shown]
	v_add_u32_e32 v2, 0x200, v58
	v_mul_u32_u24_e32 v35, 6, v53
	v_add_u32_e32 v9, 0xa00, v58
	v_add_u32_e32 v32, 0x800, v58
	;; [unrolled: 1-line block ×4, first 2 shown]
	ds_read2_b32 v[21:22], v58 offset0:85 offset1:170
	ds_read_b32 v52, v58 offset:4420
	ds_read_b32 v56, v55
	ds_read2_b32 v[44:45], v2 offset0:127 offset1:212
	ds_read2_b32 v[46:47], v9 offset0:125 offset1:210
	;; [unrolled: 1-line block ×5, first 2 shown]
	v_lshlrev_b32_e32 v2, 3, v35
	global_load_dwordx4 v[32:35], v2, s[8:9] offset:1224
	global_load_dwordx4 v[36:39], v2, s[8:9] offset:1256
	;; [unrolled: 1-line block ×3, first 2 shown]
	s_mov_b32 s1, 0x3eae86e6
	s_mov_b32 s2, 0xbf3bfb3b
	;; [unrolled: 1-line block ×4, first 2 shown]
	s_waitcnt vmcnt(5)
	v_mul_f32_e32 v2, v3, v17
	s_waitcnt vmcnt(4)
	v_mul_f32_e32 v9, v23, v26
	;; [unrolled: 2-line block ×3, first 2 shown]
	v_mul_f32_e32 v62, v12, v28
	v_mul_f32_e32 v63, v10, v19
	;; [unrolled: 1-line block ×9, first 2 shown]
	s_waitcnt lgkmcnt(4)
	v_fmac_f32_e32 v2, v44, v18
	s_waitcnt lgkmcnt(3)
	v_fmac_f32_e32 v58, v46, v31
	;; [unrolled: 2-line block ×5, first 2 shown]
	v_fma_f32 v18, v52, v26, -v23
	v_fma_f32 v3, v44, v17, -v3
	;; [unrolled: 1-line block ×4, first 2 shown]
	v_fmac_f32_e32 v9, v52, v27
	v_fma_f32 v12, v48, v28, -v12
	v_fma_f32 v5, v46, v30, -v5
	v_sub_f32_e32 v10, v58, v62
	v_sub_f32_e32 v20, v63, v64
	v_add_f32_e32 v23, v3, v18
	v_add_f32_e32 v25, v17, v14
	v_sub_f32_e32 v19, v2, v9
	v_add_f32_e32 v24, v5, v12
	v_add_f32_e32 v26, v2, v9
	v_add_f32_e32 v2, v58, v62
	v_add_f32_e32 v27, v63, v64
	v_add_f32_e32 v9, v10, v20
	v_add_f32_e32 v29, v23, v25
	v_sub_f32_e32 v28, v3, v18
	v_sub_f32_e32 v3, v10, v20
	;; [unrolled: 1-line block ×4, first 2 shown]
	v_add_f32_e32 v44, v26, v27
	v_add_f32_e32 v50, v19, v9
	;; [unrolled: 1-line block ×3, first 2 shown]
	v_sub_f32_e32 v5, v5, v12
	v_sub_f32_e32 v12, v19, v10
	;; [unrolled: 1-line block ×3, first 2 shown]
	v_mul_f32_e32 v48, 0x3f08b237, v3
	v_mul_f32_e32 v54, 0x3d64c772, v18
	v_mul_f32_e32 v29, 0x3d64c772, v31
	v_add_f32_e32 v18, v2, v44
	v_add_f32_e32 v3, v21, v9
	v_sub_f32_e32 v19, v20, v19
	v_sub_f32_e32 v30, v26, v2
	v_mul_f32_e32 v52, 0x3f4a47b2, v10
	v_mov_b32_e32 v31, v48
	v_mov_b32_e32 v21, v29
	v_add_f32_e32 v2, v7, v18
	v_mov_b32_e32 v7, v3
	v_sub_f32_e32 v14, v17, v14
	v_mul_f32_e32 v17, 0xbf5ff5aa, v19
	v_sub_f32_e32 v20, v25, v23
	v_mul_f32_e32 v24, 0x3f4a47b2, v30
	v_fmac_f32_e32 v31, 0xbeae86e6, v12
	v_fmac_f32_e32 v21, 0x3f4a47b2, v30
	v_mov_b32_e32 v30, v2
	v_fmac_f32_e32 v7, 0xbf955555, v9
	v_sub_f32_e32 v9, v5, v14
	v_fma_f32 v12, v12, s1, -v17
	v_fma_f32 v17, v20, s2, -v52
	v_sub_f32_e32 v23, v27, v26
	v_sub_f32_e32 v46, v28, v5
	v_fmac_f32_e32 v30, 0xbf955555, v18
	v_mul_f32_e32 v58, 0x3f08b237, v9
	v_add_f32_e32 v5, v5, v14
	v_add_f32_e32 v25, v17, v7
	v_fma_f32 v17, v23, s2, -v24
	v_sub_f32_e32 v14, v14, v28
	v_mov_b32_e32 v62, v58
	v_add_f32_e32 v27, v17, v30
	v_mul_f32_e32 v17, 0xbf5ff5aa, v14
	v_mov_b32_e32 v44, v54
	v_fmac_f32_e32 v62, 0xbeae86e6, v46
	v_add_f32_e32 v5, v28, v5
	v_fma_f32 v28, v46, s1, -v17
	v_fma_f32 v14, v14, s0, -v58
	v_fmac_f32_e32 v44, 0x3f4a47b2, v10
	v_fmac_f32_e32 v62, 0xbee1c552, v5
	v_fmac_f32_e32 v28, 0xbee1c552, v5
	v_fmac_f32_e32 v14, 0xbee1c552, v5
	v_fma_f32 v5, v23, s3, -v29
	v_fmac_f32_e32 v31, 0xbee1c552, v50
	v_add_f32_e32 v44, v44, v7
	v_fmac_f32_e32 v12, 0xbee1c552, v50
	v_add_f32_e32 v5, v5, v30
	v_add_f32_e32 v21, v21, v30
	;; [unrolled: 1-line block ×4, first 2 shown]
	v_sub_f32_e32 v17, v27, v28
	v_fma_f32 v24, v19, s0, -v48
	v_add_f32_e32 v19, v14, v5
	v_sub_f32_e32 v23, v5, v14
	v_sub_f32_e32 v26, v25, v12
	v_add_f32_e32 v25, v28, v27
	v_sub_f32_e32 v28, v44, v31
	s_waitcnt vmcnt(2)
	v_mul_f32_e32 v12, v8, v32
	s_waitcnt vmcnt(1)
	v_mul_f32_e32 v14, v15, v38
	;; [unrolled: 2-line block ×3, first 2 shown]
	v_mul_f32_e32 v30, v11, v40
	v_mul_f32_e32 v44, v4, v34
	;; [unrolled: 1-line block ×3, first 2 shown]
	v_fma_f32 v20, v20, s3, -v54
	v_fmac_f32_e32 v12, v22, v33
	v_fmac_f32_e32 v14, v55, v39
	;; [unrolled: 1-line block ×6, first 2 shown]
	v_sub_f32_e32 v9, v21, v62
	v_add_f32_e32 v7, v20, v7
	v_fmac_f32_e32 v24, 0xbee1c552, v50
	v_add_f32_e32 v27, v62, v21
	v_sub_f32_e32 v21, v12, v14
	v_sub_f32_e32 v5, v29, v30
	;; [unrolled: 1-line block ×4, first 2 shown]
	v_add_f32_e32 v24, v24, v7
	v_sub_f32_e32 v31, v21, v5
	v_sub_f32_e32 v7, v5, v48
	v_add_f32_e32 v5, v5, v48
	v_add_f32_e32 v54, v21, v5
	v_mul_f32_e32 v5, v15, v39
	v_fma_f32 v15, v55, v38, -v5
	v_mul_f32_e32 v5, v8, v33
	v_fma_f32 v8, v22, v32, -v5
	;; [unrolled: 2-line block ×3, first 2 shown]
	v_mul_f32_e32 v5, v13, v43
	v_mul_f32_e32 v6, v6, v37
	v_mul_f32_e32 v4, v4, v35
	v_fma_f32 v13, v49, v42, -v5
	v_fma_f32 v6, v47, v36, -v6
	;; [unrolled: 1-line block ×3, first 2 shown]
	v_add_f32_e32 v5, v13, v11
	v_add_f32_e32 v34, v33, v6
	v_sub_f32_e32 v4, v5, v34
	v_add_f32_e32 v22, v8, v15
	v_mul_f32_e32 v35, 0x3d64c772, v4
	v_mul_f32_e32 v50, 0x3f08b237, v7
	v_sub_f32_e32 v7, v22, v5
	v_mov_b32_e32 v4, v35
	v_mul_f32_e32 v32, 0x3f4a47b2, v7
	v_fmac_f32_e32 v4, 0x3f4a47b2, v7
	v_add_f32_e32 v7, v22, v34
	v_add_f32_e32 v7, v5, v7
	;; [unrolled: 1-line block ×3, first 2 shown]
	v_mov_b32_e32 v36, v5
	v_fmac_f32_e32 v36, 0xbf955555, v7
	v_add_f32_e32 v37, v4, v36
	v_add_f32_e32 v4, v29, v30
	;; [unrolled: 1-line block ×3, first 2 shown]
	v_sub_f32_e32 v38, v4, v30
	v_add_f32_e32 v14, v12, v14
	v_mul_f32_e32 v38, 0x3d64c772, v38
	v_sub_f32_e32 v12, v14, v4
	v_mov_b32_e32 v39, v38
	v_mul_f32_e32 v29, 0x3f4a47b2, v12
	v_fmac_f32_e32 v39, 0x3f4a47b2, v12
	v_add_f32_e32 v12, v14, v30
	v_sub_f32_e32 v8, v8, v15
	v_sub_f32_e32 v11, v13, v11
	;; [unrolled: 1-line block ×3, first 2 shown]
	v_add_f32_e32 v12, v4, v12
	v_sub_f32_e32 v6, v11, v15
	v_sub_f32_e32 v21, v48, v21
	v_mov_b32_e32 v52, v50
	v_add_f32_e32 v4, v16, v12
	v_sub_f32_e32 v13, v8, v11
	v_mul_f32_e32 v33, 0x3f08b237, v6
	v_add_f32_e32 v6, v11, v15
	v_mul_f32_e32 v11, 0xbf5ff5aa, v21
	v_sub_f32_e32 v22, v34, v22
	v_fmac_f32_e32 v52, 0xbeae86e6, v31
	v_mov_b32_e32 v16, v4
	v_fma_f32 v31, v31, s1, -v11
	v_fma_f32 v11, v22, s2, -v32
	v_sub_f32_e32 v30, v30, v14
	v_fmac_f32_e32 v16, 0xbf955555, v12
	v_add_f32_e32 v41, v8, v6
	v_add_f32_e32 v32, v11, v36
	v_fma_f32 v11, v30, s2, -v29
	v_sub_f32_e32 v8, v15, v8
	v_mov_b32_e32 v40, v33
	v_add_f32_e32 v29, v11, v16
	v_mul_f32_e32 v11, 0xbf5ff5aa, v8
	v_fmac_f32_e32 v40, 0xbeae86e6, v13
	v_fma_f32 v34, v13, s1, -v11
	v_fma_f32 v13, v22, s3, -v35
	v_add_f32_e32 v22, v13, v36
	v_fma_f32 v13, v30, s3, -v38
	v_add_f32_e32 v39, v39, v16
	v_fma_f32 v21, v21, s0, -v50
	v_fma_f32 v8, v8, s0, -v33
	v_add_f32_e32 v30, v13, v16
	v_mad_u64_u32 v[15:16], s[0:1], s12, v53, 0
	v_fmac_f32_e32 v21, 0xbee1c552, v54
	v_fmac_f32_e32 v8, 0xbee1c552, v41
	;; [unrolled: 1-line block ×3, first 2 shown]
	v_sub_f32_e32 v14, v22, v21
	v_add_f32_e32 v13, v8, v30
	v_add_f32_e32 v22, v21, v22
	v_sub_f32_e32 v21, v30, v8
	v_mov_b32_e32 v8, v16
	v_add_f32_e32 v12, v31, v32
	v_sub_f32_e32 v30, v32, v31
	v_mad_u64_u32 v[31:32], s[0:1], s13, v53, v[8:9]
	v_fmac_f32_e32 v34, 0xbee1c552, v41
	v_sub_f32_e32 v11, v29, v34
	v_add_f32_e32 v29, v34, v29
	v_mov_b32_e32 v16, v31
	v_mov_b32_e32 v8, s15
	v_mad_u64_u32 v[34:35], s[0:1], s12, v61, 0
	v_add_co_u32_e32 v31, vcc, s14, v0
	v_addc_co_u32_e32 v36, vcc, v8, v1, vcc
	v_lshlrev_b64 v[0:1], 3, v[15:16]
	v_mov_b32_e32 v8, v35
	v_add_co_u32_e32 v0, vcc, v31, v0
	v_addc_co_u32_e32 v1, vcc, v36, v1, vcc
	v_mad_u64_u32 v[15:16], s[0:1], s13, v61, v[8:9]
	global_store_dwordx2 v[0:1], v[4:5], off
	v_mad_u64_u32 v[4:5], s[0:1], s12, v60, 0
	v_fmac_f32_e32 v40, 0xbee1c552, v41
	v_sub_f32_e32 v6, v39, v40
	v_mov_b32_e32 v35, v15
	v_mad_u64_u32 v[15:16], s[0:1], s13, v60, v[5:6]
	v_lshlrev_b64 v[0:1], 3, v[34:35]
	v_mad_u64_u32 v[34:35], s[0:1], s12, v59, 0
	v_fmac_f32_e32 v52, 0xbee1c552, v54
	v_add_co_u32_e32 v0, vcc, v31, v0
	v_sub_f32_e32 v33, v37, v52
	v_add_f32_e32 v32, v40, v39
	v_addc_co_u32_e32 v1, vcc, v36, v1, vcc
	v_mov_b32_e32 v5, v15
	global_store_dwordx2 v[0:1], v[32:33], off
	v_lshlrev_b64 v[0:1], 3, v[4:5]
	v_mov_b32_e32 v4, v35
	v_mad_u64_u32 v[4:5], s[0:1], s13, v59, v[4:5]
	v_add_u32_e32 v8, 0x2a8, v53
	v_add_co_u32_e32 v0, vcc, v31, v0
	v_mov_b32_e32 v35, v4
	v_mad_u64_u32 v[4:5], s[0:1], s12, v8, 0
	v_addc_co_u32_e32 v1, vcc, v36, v1, vcc
	v_mad_u64_u32 v[15:16], s[0:1], s13, v8, v[5:6]
	v_add_u32_e32 v8, 0x352, v53
	global_store_dwordx2 v[0:1], v[29:30], off
	v_lshlrev_b64 v[0:1], 3, v[34:35]
	v_mad_u64_u32 v[29:30], s[0:1], s12, v8, 0
	v_add_co_u32_e32 v0, vcc, v31, v0
	v_addc_co_u32_e32 v1, vcc, v36, v1, vcc
	v_mov_b32_e32 v5, v15
	global_store_dwordx2 v[0:1], v[21:22], off
	v_lshlrev_b64 v[0:1], 3, v[4:5]
	v_mov_b32_e32 v4, v30
	v_mad_u64_u32 v[4:5], s[0:1], s13, v8, v[4:5]
	v_add_u32_e32 v8, 0x3fc, v53
	v_add_co_u32_e32 v0, vcc, v31, v0
	v_mov_b32_e32 v30, v4
	v_mad_u64_u32 v[4:5], s[0:1], s12, v8, 0
	s_mov_b32 s0, 0xc0c0c0c1
	v_mul_hi_u32 v15, v57, s0
	v_addc_co_u32_e32 v1, vcc, v36, v1, vcc
	global_store_dwordx2 v[0:1], v[13:14], off
	s_movk_i32 s2, 0x3fc
	v_mad_u64_u32 v[13:14], s[0:1], s13, v8, v[5:6]
	v_lshrrev_b32_e32 v5, 7, v15
	v_mad_u32_u24 v8, v5, s2, v57
	v_lshlrev_b64 v[0:1], 3, v[29:30]
	v_mad_u64_u32 v[14:15], s[0:1], s12, v8, 0
	v_add_co_u32_e32 v0, vcc, v31, v0
	v_addc_co_u32_e32 v1, vcc, v36, v1, vcc
	v_mov_b32_e32 v5, v13
	global_store_dwordx2 v[0:1], v[11:12], off
	v_lshlrev_b64 v[0:1], 3, v[4:5]
	v_mov_b32_e32 v4, v15
	v_mad_u64_u32 v[4:5], s[0:1], s13, v8, v[4:5]
	v_add_co_u32_e32 v0, vcc, v31, v0
	v_add_f32_e32 v7, v52, v37
	v_addc_co_u32_e32 v1, vcc, v36, v1, vcc
	global_store_dwordx2 v[0:1], v[6:7], off
	v_add_u32_e32 v6, 0xaa, v8
	v_mov_b32_e32 v15, v4
	v_mad_u64_u32 v[4:5], s[0:1], s12, v6, 0
	v_add_u32_e32 v11, 0x154, v8
	v_lshlrev_b64 v[0:1], 3, v[14:15]
	v_mad_u64_u32 v[5:6], s[0:1], s13, v6, v[5:6]
	v_mad_u64_u32 v[6:7], s[0:1], s12, v11, 0
	v_add_co_u32_e32 v0, vcc, v31, v0
	v_addc_co_u32_e32 v1, vcc, v36, v1, vcc
	global_store_dwordx2 v[0:1], v[2:3], off
	v_mov_b32_e32 v2, v7
	v_mad_u64_u32 v[2:3], s[0:1], s13, v11, v[2:3]
	v_lshlrev_b64 v[0:1], 3, v[4:5]
	v_add_u32_e32 v4, 0x1fe, v8
	v_mov_b32_e32 v7, v2
	v_mad_u64_u32 v[2:3], s[0:1], s12, v4, 0
	v_add_co_u32_e32 v0, vcc, v31, v0
	v_addc_co_u32_e32 v1, vcc, v36, v1, vcc
	global_store_dwordx2 v[0:1], v[27:28], off
	v_lshlrev_b64 v[0:1], 3, v[6:7]
	v_mad_u64_u32 v[3:4], s[0:1], s13, v4, v[3:4]
	v_add_u32_e32 v6, 0x2a8, v8
	v_mad_u64_u32 v[4:5], s[0:1], s12, v6, 0
	v_add_co_u32_e32 v0, vcc, v31, v0
	v_addc_co_u32_e32 v1, vcc, v36, v1, vcc
	global_store_dwordx2 v[0:1], v[25:26], off
	v_lshlrev_b64 v[0:1], 3, v[2:3]
	v_mov_b32_e32 v2, v5
	v_mad_u64_u32 v[2:3], s[0:1], s13, v6, v[2:3]
	v_add_co_u32_e32 v0, vcc, v31, v0
	v_addc_co_u32_e32 v1, vcc, v36, v1, vcc
	v_mov_b32_e32 v5, v2
	global_store_dwordx2 v[0:1], v[23:24], off
	v_lshlrev_b64 v[0:1], 3, v[4:5]
	v_add_u32_e32 v4, 0x352, v8
	v_mad_u64_u32 v[2:3], s[0:1], s12, v4, 0
	v_add_u32_e32 v6, 0x3fc, v8
	v_add_co_u32_e32 v0, vcc, v31, v0
	v_mad_u64_u32 v[3:4], s[0:1], s13, v4, v[3:4]
	v_mad_u64_u32 v[4:5], s[0:1], s12, v6, 0
	v_addc_co_u32_e32 v1, vcc, v36, v1, vcc
	global_store_dwordx2 v[0:1], v[19:20], off
	v_lshlrev_b64 v[0:1], 3, v[2:3]
	v_mov_b32_e32 v2, v5
	v_mad_u64_u32 v[2:3], s[0:1], s13, v6, v[2:3]
	v_add_co_u32_e32 v0, vcc, v31, v0
	v_addc_co_u32_e32 v1, vcc, v36, v1, vcc
	v_mov_b32_e32 v5, v2
	global_store_dwordx2 v[0:1], v[17:18], off
	v_lshlrev_b64 v[0:1], 3, v[4:5]
	v_add_co_u32_e32 v0, vcc, v31, v0
	v_addc_co_u32_e32 v1, vcc, v36, v1, vcc
	global_store_dwordx2 v[0:1], v[9:10], off
.LBB0_24:
	s_endpgm
	.section	.rodata,"a",@progbits
	.p2align	6, 0x0
	.amdhsa_kernel fft_rtc_back_len1190_factors_17_2_5_7_wgs_255_tpt_85_halfLds_sp_ip_CI_sbrr_dirReg
		.amdhsa_group_segment_fixed_size 0
		.amdhsa_private_segment_fixed_size 0
		.amdhsa_kernarg_size 88
		.amdhsa_user_sgpr_count 6
		.amdhsa_user_sgpr_private_segment_buffer 1
		.amdhsa_user_sgpr_dispatch_ptr 0
		.amdhsa_user_sgpr_queue_ptr 0
		.amdhsa_user_sgpr_kernarg_segment_ptr 1
		.amdhsa_user_sgpr_dispatch_id 0
		.amdhsa_user_sgpr_flat_scratch_init 0
		.amdhsa_user_sgpr_private_segment_size 0
		.amdhsa_uses_dynamic_stack 0
		.amdhsa_system_sgpr_private_segment_wavefront_offset 0
		.amdhsa_system_sgpr_workgroup_id_x 1
		.amdhsa_system_sgpr_workgroup_id_y 0
		.amdhsa_system_sgpr_workgroup_id_z 0
		.amdhsa_system_sgpr_workgroup_info 0
		.amdhsa_system_vgpr_workitem_id 0
		.amdhsa_next_free_vgpr 83
		.amdhsa_next_free_sgpr 24
		.amdhsa_reserve_vcc 1
		.amdhsa_reserve_flat_scratch 0
		.amdhsa_float_round_mode_32 0
		.amdhsa_float_round_mode_16_64 0
		.amdhsa_float_denorm_mode_32 3
		.amdhsa_float_denorm_mode_16_64 3
		.amdhsa_dx10_clamp 1
		.amdhsa_ieee_mode 1
		.amdhsa_fp16_overflow 0
		.amdhsa_exception_fp_ieee_invalid_op 0
		.amdhsa_exception_fp_denorm_src 0
		.amdhsa_exception_fp_ieee_div_zero 0
		.amdhsa_exception_fp_ieee_overflow 0
		.amdhsa_exception_fp_ieee_underflow 0
		.amdhsa_exception_fp_ieee_inexact 0
		.amdhsa_exception_int_div_zero 0
	.end_amdhsa_kernel
	.text
.Lfunc_end0:
	.size	fft_rtc_back_len1190_factors_17_2_5_7_wgs_255_tpt_85_halfLds_sp_ip_CI_sbrr_dirReg, .Lfunc_end0-fft_rtc_back_len1190_factors_17_2_5_7_wgs_255_tpt_85_halfLds_sp_ip_CI_sbrr_dirReg
                                        ; -- End function
	.section	.AMDGPU.csdata,"",@progbits
; Kernel info:
; codeLenInByte = 12632
; NumSgprs: 28
; NumVgprs: 83
; ScratchSize: 0
; MemoryBound: 0
; FloatMode: 240
; IeeeMode: 1
; LDSByteSize: 0 bytes/workgroup (compile time only)
; SGPRBlocks: 3
; VGPRBlocks: 20
; NumSGPRsForWavesPerEU: 28
; NumVGPRsForWavesPerEU: 83
; Occupancy: 3
; WaveLimiterHint : 1
; COMPUTE_PGM_RSRC2:SCRATCH_EN: 0
; COMPUTE_PGM_RSRC2:USER_SGPR: 6
; COMPUTE_PGM_RSRC2:TRAP_HANDLER: 0
; COMPUTE_PGM_RSRC2:TGID_X_EN: 1
; COMPUTE_PGM_RSRC2:TGID_Y_EN: 0
; COMPUTE_PGM_RSRC2:TGID_Z_EN: 0
; COMPUTE_PGM_RSRC2:TIDIG_COMP_CNT: 0
	.type	__hip_cuid_3c42cc09ba243c9e,@object ; @__hip_cuid_3c42cc09ba243c9e
	.section	.bss,"aw",@nobits
	.globl	__hip_cuid_3c42cc09ba243c9e
__hip_cuid_3c42cc09ba243c9e:
	.byte	0                               ; 0x0
	.size	__hip_cuid_3c42cc09ba243c9e, 1

	.ident	"AMD clang version 19.0.0git (https://github.com/RadeonOpenCompute/llvm-project roc-6.4.0 25133 c7fe45cf4b819c5991fe208aaa96edf142730f1d)"
	.section	".note.GNU-stack","",@progbits
	.addrsig
	.addrsig_sym __hip_cuid_3c42cc09ba243c9e
	.amdgpu_metadata
---
amdhsa.kernels:
  - .args:
      - .actual_access:  read_only
        .address_space:  global
        .offset:         0
        .size:           8
        .value_kind:     global_buffer
      - .offset:         8
        .size:           8
        .value_kind:     by_value
      - .actual_access:  read_only
        .address_space:  global
        .offset:         16
        .size:           8
        .value_kind:     global_buffer
      - .actual_access:  read_only
        .address_space:  global
        .offset:         24
        .size:           8
        .value_kind:     global_buffer
      - .offset:         32
        .size:           8
        .value_kind:     by_value
      - .actual_access:  read_only
        .address_space:  global
        .offset:         40
        .size:           8
        .value_kind:     global_buffer
      - .actual_access:  read_only
        .address_space:  global
        .offset:         48
        .size:           8
        .value_kind:     global_buffer
      - .offset:         56
        .size:           4
        .value_kind:     by_value
      - .actual_access:  read_only
        .address_space:  global
        .offset:         64
        .size:           8
        .value_kind:     global_buffer
      - .actual_access:  read_only
        .address_space:  global
        .offset:         72
        .size:           8
        .value_kind:     global_buffer
      - .address_space:  global
        .offset:         80
        .size:           8
        .value_kind:     global_buffer
    .group_segment_fixed_size: 0
    .kernarg_segment_align: 8
    .kernarg_segment_size: 88
    .language:       OpenCL C
    .language_version:
      - 2
      - 0
    .max_flat_workgroup_size: 255
    .name:           fft_rtc_back_len1190_factors_17_2_5_7_wgs_255_tpt_85_halfLds_sp_ip_CI_sbrr_dirReg
    .private_segment_fixed_size: 0
    .sgpr_count:     28
    .sgpr_spill_count: 0
    .symbol:         fft_rtc_back_len1190_factors_17_2_5_7_wgs_255_tpt_85_halfLds_sp_ip_CI_sbrr_dirReg.kd
    .uniform_work_group_size: 1
    .uses_dynamic_stack: false
    .vgpr_count:     83
    .vgpr_spill_count: 0
    .wavefront_size: 64
amdhsa.target:   amdgcn-amd-amdhsa--gfx906
amdhsa.version:
  - 1
  - 2
...

	.end_amdgpu_metadata
